;; amdgpu-corpus repo=ROCm/rocFFT kind=compiled arch=gfx1100 opt=O3
	.text
	.amdgcn_target "amdgcn-amd-amdhsa--gfx1100"
	.amdhsa_code_object_version 6
	.protected	bluestein_single_fwd_len726_dim1_dp_op_CI_CI ; -- Begin function bluestein_single_fwd_len726_dim1_dp_op_CI_CI
	.globl	bluestein_single_fwd_len726_dim1_dp_op_CI_CI
	.p2align	8
	.type	bluestein_single_fwd_len726_dim1_dp_op_CI_CI,@function
bluestein_single_fwd_len726_dim1_dp_op_CI_CI: ; @bluestein_single_fwd_len726_dim1_dp_op_CI_CI
; %bb.0:
	s_load_b128 s[16:19], s[0:1], 0x28
	v_mul_u32_u24_e32 v1, 0x3e1, v0
	v_mov_b32_e32 v3, 0
	s_mov_b32 s2, exec_lo
	s_delay_alu instid0(VALU_DEP_2) | instskip(NEXT) | instid1(VALU_DEP_1)
	v_lshrrev_b32_e32 v44, 16, v1
	v_lshl_add_u32 v2, s15, 1, v44
	s_waitcnt lgkmcnt(0)
	s_delay_alu instid0(VALU_DEP_1)
	v_cmpx_gt_u64_e64 s[16:17], v[2:3]
	s_cbranch_execz .LBB0_10
; %bb.1:
	s_clause 0x1
	s_load_b128 s[4:7], s[0:1], 0x18
	s_load_b128 s[8:11], s[0:1], 0x0
	v_mul_lo_u16 v1, 0x42, v44
	v_mov_b32_e32 v3, v2
	s_mov_b32 s22, 0xf8bb580b
	s_mov_b32 s23, 0xbfe14ced
	;; [unrolled: 1-line block ×3, first 2 shown]
	v_sub_nc_u16 v68, v0, v1
	scratch_store_b64 off, v[3:4], off offset:84 ; 8-byte Folded Spill
	s_mov_b32 s21, 0xbfefac9e
	s_mov_b32 s24, 0xbb3a28a1
	;; [unrolled: 1-line block ×11, first 2 shown]
	s_waitcnt lgkmcnt(0)
	s_load_b128 s[12:15], s[4:5], 0x0
	s_mov_b32 s30, s20
	s_mov_b32 s17, 0xbfeeb42a
	s_waitcnt lgkmcnt(0)
	v_mad_u64_u32 v[16:17], null, s14, v2, 0
	v_and_b32_e32 v173, 0xffff, v68
	s_mul_hi_u32 s3, s12, 0x420
	s_mul_i32 s4, s12, 0x420
	s_delay_alu instid0(VALU_DEP_2) | instskip(NEXT) | instid1(VALU_DEP_2)
	v_mov_b32_e32 v0, v17
	v_mad_u64_u32 v[18:19], null, s12, v173, 0
	s_delay_alu instid0(VALU_DEP_1)
	v_dual_mov_b32 v8, v19 :: v_dual_lshlrev_b32 v1, 4, v173
	s_clause 0x1
	global_load_b128 v[3:6], v1, s[8:9]
	global_load_b128 v[9:12], v1, s[8:9] offset:1056
	v_mad_u64_u32 v[19:20], null, s15, v2, v[0:1]
	v_add_co_u32 v255, s2, s8, v1
	s_delay_alu instid0(VALU_DEP_1)
	v_add_co_ci_u32_e64 v175, null, s9, 0, s2
	s_mul_i32 s2, s13, 0x420
	s_clause 0x1
	global_load_b128 v[23:26], v1, s[8:9] offset:2112
	global_load_b128 v[27:30], v1, s[8:9] offset:3168
	v_mov_b32_e32 v17, v19
	s_add_i32 s3, s3, s2
	s_mov_b32 s8, 0xd9c712b6
	s_mov_b32 s9, 0x3fda9628
	;; [unrolled: 1-line block ×3, first 2 shown]
	v_lshlrev_b64 v[16:17], 4, v[16:17]
	s_mov_b32 s15, 0xbfe4f49e
	s_waitcnt vmcnt(2)
	v_mad_u64_u32 v[20:21], null, s13, v173, v[8:9]
	v_add_co_u32 v21, vcc_lo, 0x1000, v255
	v_add_co_ci_u32_e32 v22, vcc_lo, 0, v175, vcc_lo
	v_add_co_u32 v132, vcc_lo, 0x2000, v255
	s_delay_alu instid0(VALU_DEP_4) | instskip(SKIP_2) | instid1(VALU_DEP_3)
	v_mov_b32_e32 v19, v20
	v_add_co_ci_u32_e32 v133, vcc_lo, 0, v175, vcc_lo
	v_add_co_u32 v0, vcc_lo, s18, v16
	v_lshlrev_b64 v[18:19], 4, v[18:19]
	v_add_co_ci_u32_e32 v2, vcc_lo, s19, v17, vcc_lo
	s_clause 0x1
	global_load_b128 v[138:141], v[21:22], off offset:128
	global_load_b128 v[13:16], v[21:22], off offset:1184
	s_mov_b32 s19, 0xbfed1bb4
	s_mov_b32 s18, 0x8eee2c13
	v_add_co_u32 v32, vcc_lo, v0, v18
	v_add_co_ci_u32_e32 v33, vcc_lo, v2, v19, vcc_lo
	s_clause 0x1
	global_load_b128 v[142:145], v[21:22], off offset:2240
	global_load_b128 v[17:20], v[21:22], off offset:3296
	v_add_co_u32 v34, vcc_lo, v32, s4
	v_add_co_ci_u32_e32 v35, vcc_lo, s3, v33, vcc_lo
	global_load_b128 v[45:48], v[32:33], off
	v_add_co_u32 v36, vcc_lo, v34, s4
	v_add_co_ci_u32_e32 v37, vcc_lo, s3, v35, vcc_lo
	s_clause 0x1
	global_load_b128 v[49:52], v[34:35], off
	global_load_b128 v[53:56], v[36:37], off
	v_add_co_u32 v38, vcc_lo, v36, s4
	v_add_co_ci_u32_e32 v39, vcc_lo, s3, v37, vcc_lo
	v_and_b32_e32 v0, 1, v44
	s_delay_alu instid0(VALU_DEP_3) | instskip(NEXT) | instid1(VALU_DEP_3)
	v_add_co_u32 v32, vcc_lo, v38, s4
	v_add_co_ci_u32_e32 v33, vcc_lo, s3, v39, vcc_lo
	s_clause 0x1
	global_load_b128 v[57:60], v[38:39], off
	global_load_b128 v[61:64], v[32:33], off
	v_add_co_u32 v34, vcc_lo, v32, s4
	v_add_co_ci_u32_e32 v35, vcc_lo, s3, v33, vcc_lo
	s_mov_b32 s12, 0x640f44db
	s_delay_alu instid0(VALU_DEP_2) | instskip(NEXT) | instid1(VALU_DEP_2)
	v_add_co_u32 v32, vcc_lo, v34, s4
	v_add_co_ci_u32_e32 v33, vcc_lo, s3, v35, vcc_lo
	global_load_b128 v[69:72], v[34:35], off
	v_add_co_u32 v34, vcc_lo, v32, s4
	v_add_co_ci_u32_e32 v35, vcc_lo, s3, v33, vcc_lo
	global_load_b128 v[73:76], v[32:33], off
	v_add_co_u32 v32, vcc_lo, v34, s4
	v_add_co_ci_u32_e32 v33, vcc_lo, s3, v35, vcc_lo
	global_load_b128 v[77:80], v[34:35], off
	v_add_co_u32 v40, vcc_lo, v32, s4
	v_add_co_ci_u32_e32 v41, vcc_lo, s3, v33, vcc_lo
	global_load_b128 v[81:84], v[32:33], off
	v_add_co_u32 v65, vcc_lo, v40, s4
	v_add_co_ci_u32_e32 v66, vcc_lo, s3, v41, vcc_lo
	s_clause 0x1
	global_load_b128 v[35:38], v[132:133], off offset:256
	global_load_b128 v[31:34], v[132:133], off offset:1312
	global_load_b128 v[85:88], v[40:41], off
	global_load_b128 v[39:42], v[132:133], off offset:2368
	global_load_b128 v[89:92], v[65:66], off
	v_cmp_eq_u32_e32 vcc_lo, 1, v0
	s_clause 0x1
	scratch_store_b128 off, v[3:6], off offset:20
	scratch_store_b128 off, v[9:12], off offset:36
	s_waitcnt vmcnt(19)
	scratch_store_b128 off, v[23:26], off offset:52 ; 16-byte Folded Spill
	s_waitcnt vmcnt(18)
	scratch_store_b128 off, v[27:30], off offset:68 ; 16-byte Folded Spill
	v_cndmask_b32_e64 v2, 0, 0x2d60, vcc_lo
	s_load_b128 s[4:7], s[6:7], 0x0
	s_mov_b32 s2, 0x8764f0ba
	s_mov_b32 s3, 0x3feaeb8c
	;; [unrolled: 1-line block ×3, first 2 shown]
	v_add_nc_u32_e32 v174, v2, v1
	v_mul_lo_u16 v0, v68, 11
	v_cmp_gt_u16_e32 vcc_lo, 55, v68
	s_delay_alu instid0(VALU_DEP_2)
	v_and_b32_e32 v0, 0xffff, v0
	s_waitcnt vmcnt(17)
	scratch_store_b128 off, v[138:141], off offset:124 ; 16-byte Folded Spill
	s_waitcnt vmcnt(16)
	scratch_store_b128 off, v[13:16], off offset:92 ; 16-byte Folded Spill
	;; [unrolled: 2-line block ×4, first 2 shown]
	s_waitcnt vmcnt(13)
	v_mul_f64 v[65:66], v[47:48], v[5:6]
	v_mul_f64 v[93:94], v[45:46], v[5:6]
	s_waitcnt vmcnt(12)
	v_mul_f64 v[95:96], v[51:52], v[11:12]
	v_mul_f64 v[97:98], v[49:50], v[11:12]
	;; [unrolled: 3-line block ×7, first 2 shown]
	v_fma_f64 v[45:46], v[45:46], v[3:4], v[65:66]
	s_waitcnt vmcnt(6)
	v_mul_f64 v[119:120], v[79:80], v[19:20]
	v_mul_f64 v[121:122], v[77:78], v[19:20]
	v_fma_f64 v[47:48], v[47:48], v[3:4], -v[93:94]
	v_fma_f64 v[49:50], v[49:50], v[9:10], v[95:96]
	s_waitcnt vmcnt(4)
	v_mul_f64 v[123:124], v[83:84], v[37:38]
	v_mul_f64 v[125:126], v[81:82], v[37:38]
	s_waitcnt vmcnt(2)
	v_mul_f64 v[127:128], v[87:88], v[33:34]
	v_mul_f64 v[129:130], v[85:86], v[33:34]
	;; [unrolled: 3-line block ×3, first 2 shown]
	v_fma_f64 v[51:52], v[51:52], v[9:10], -v[97:98]
	v_fma_f64 v[53:54], v[53:54], v[23:24], v[99:100]
	v_fma_f64 v[55:56], v[55:56], v[23:24], -v[101:102]
	s_clause 0x1
	scratch_store_b128 off, v[35:38], off offset:172
	scratch_store_b128 off, v[31:34], off offset:156
	v_fma_f64 v[57:58], v[57:58], v[27:28], v[103:104]
	v_fma_f64 v[59:60], v[59:60], v[27:28], -v[105:106]
	v_fma_f64 v[61:62], v[61:62], v[138:139], v[107:108]
	v_fma_f64 v[63:64], v[63:64], v[138:139], -v[109:110]
	scratch_store_b128 off, v[39:42], off offset:188 ; 16-byte Folded Spill
	v_fma_f64 v[69:70], v[69:70], v[13:14], v[111:112]
	v_fma_f64 v[71:72], v[71:72], v[13:14], -v[113:114]
	v_fma_f64 v[73:74], v[73:74], v[142:143], v[115:116]
	v_fma_f64 v[75:76], v[75:76], v[142:143], -v[117:118]
	;; [unrolled: 2-line block ×6, first 2 shown]
	ds_store_b128 v174, v[45:48]
	ds_store_b128 v174, v[49:52] offset:1056
	ds_store_b128 v174, v[53:56] offset:2112
	;; [unrolled: 1-line block ×10, first 2 shown]
	s_waitcnt lgkmcnt(0)
	s_waitcnt_vscnt null, 0x0
	s_barrier
	buffer_gl0_inv
	ds_load_b128 v[48:51], v174
	ds_load_b128 v[69:72], v174 offset:1056
	ds_load_b128 v[44:47], v174 offset:10560
	;; [unrolled: 1-line block ×10, first 2 shown]
	scratch_store_b32 off, v2, off          ; 4-byte Folded Spill
	s_waitcnt lgkmcnt(0)
	s_waitcnt_vscnt null, 0x0
	s_barrier
	buffer_gl0_inv
	v_add_f64 v[89:90], v[48:49], v[69:70]
	v_add_f64 v[91:92], v[50:51], v[71:72]
	v_add_f64 v[93:94], v[71:72], -v[46:47]
	v_add_f64 v[95:96], v[69:70], -v[44:45]
	;; [unrolled: 1-line block ×4, first 2 shown]
	v_add_f64 v[105:106], v[77:78], v[56:57]
	v_add_f64 v[107:108], v[79:80], v[58:59]
	v_add_f64 v[97:98], v[73:74], -v[52:53]
	v_add_f64 v[99:100], v[75:76], -v[54:55]
	v_add_f64 v[69:70], v[69:70], v[44:45]
	v_add_f64 v[71:72], v[71:72], v[46:47]
	v_add_f64 v[121:122], v[85:86], -v[64:65]
	v_add_f64 v[109:110], v[81:82], v[60:61]
	v_add_f64 v[111:112], v[83:84], -v[62:63]
	v_add_f64 v[113:114], v[81:82], -v[60:61]
	v_add_f64 v[115:116], v[83:84], v[62:63]
	v_add_f64 v[117:118], v[85:86], v[64:65]
	v_add_f64 v[119:120], v[87:88], v[66:67]
	v_add_f64 v[123:124], v[87:88], -v[66:67]
	v_add_f64 v[89:90], v[89:90], v[73:74]
	v_add_f64 v[91:92], v[91:92], v[75:76]
	v_mul_f64 v[125:126], v[93:94], s[22:23]
	v_mul_f64 v[127:128], v[95:96], s[22:23]
	;; [unrolled: 1-line block ×12, first 2 shown]
	s_mov_b32 s19, 0x3fed1bb4
	v_add_f64 v[73:74], v[73:74], v[52:53]
	v_add_f64 v[75:76], v[75:76], v[54:55]
	v_mul_f64 v[148:149], v[99:100], s[24:25]
	v_mul_f64 v[150:151], v[97:98], s[24:25]
	;; [unrolled: 1-line block ×21, first 2 shown]
	v_add_f64 v[77:78], v[89:90], v[77:78]
	v_add_f64 v[79:80], v[91:92], v[79:80]
	v_mul_f64 v[89:90], v[99:100], s[34:35]
	v_mul_f64 v[91:92], v[97:98], s[34:35]
	v_fma_f64 v[210:211], v[69:70], s[8:9], -v[129:130]
	v_fma_f64 v[212:213], v[71:72], s[8:9], v[134:135]
	v_fma_f64 v[214:215], v[69:70], s[12:13], -v[136:137]
	v_fma_f64 v[216:217], v[71:72], s[12:13], v[138:139]
	v_fma_f64 v[129:130], v[69:70], s[8:9], v[129:130]
	;; [unrolled: 1-line block ×3, first 2 shown]
	v_fma_f64 v[218:219], v[69:70], s[14:15], -v[140:141]
	v_fma_f64 v[220:221], v[71:72], s[14:15], v[142:143]
	v_mul_f64 v[99:100], v[99:100], s[28:29]
	v_mul_f64 v[97:98], v[97:98], s[28:29]
	v_fma_f64 v[140:141], v[69:70], s[14:15], v[140:141]
	v_fma_f64 v[222:223], v[69:70], s[16:17], -v[93:94]
	v_fma_f64 v[224:225], v[71:72], s[16:17], v[95:96]
	v_fma_f64 v[134:135], v[71:72], s[8:9], -v[134:135]
	v_fma_f64 v[138:139], v[71:72], s[12:13], -v[138:139]
	;; [unrolled: 1-line block ×4, first 2 shown]
	v_fma_f64 v[228:229], v[75:76], s[14:15], v[150:151]
	v_fma_f64 v[148:149], v[73:74], s[14:15], v[148:149]
	v_fma_f64 v[234:235], v[73:74], s[12:13], -v[152:153]
	v_fma_f64 v[236:237], v[75:76], s[12:13], v[154:155]
	v_fma_f64 v[152:153], v[73:74], s[12:13], v[152:153]
	v_fma_f64 v[150:151], v[75:76], s[14:15], -v[150:151]
	v_mul_f64 v[184:185], v[113:114], s[30:31]
	v_mul_f64 v[186:187], v[111:112], s[22:23]
	;; [unrolled: 1-line block ×7, first 2 shown]
	v_fma_f64 v[238:239], v[105:106], s[16:17], -v[160:161]
	v_fma_f64 v[240:241], v[107:108], s[16:17], v[162:163]
	v_fma_f64 v[160:161], v[105:106], s[16:17], v[160:161]
	v_fma_f64 v[162:163], v[107:108], s[16:17], -v[162:163]
	v_add_f64 v[77:78], v[77:78], v[81:82]
	v_add_f64 v[79:80], v[79:80], v[83:84]
	v_mul_f64 v[81:82], v[121:122], s[18:19]
	v_fma_f64 v[83:84], v[69:70], s[2:3], -v[125:126]
	v_fma_f64 v[121:122], v[71:72], s[2:3], v[127:128]
	v_fma_f64 v[125:126], v[69:70], s[2:3], v[125:126]
	v_fma_f64 v[127:128], v[71:72], s[2:3], -v[127:128]
	v_fma_f64 v[69:70], v[69:70], s[16:17], v[93:94]
	v_fma_f64 v[71:72], v[71:72], s[16:17], -v[95:96]
	v_fma_f64 v[93:94], v[73:74], s[8:9], -v[144:145]
	v_fma_f64 v[95:96], v[75:76], s[8:9], v[146:147]
	v_fma_f64 v[144:145], v[73:74], s[8:9], v[144:145]
	v_fma_f64 v[146:147], v[75:76], s[8:9], -v[146:147]
	v_add_f64 v[210:211], v[48:49], v[210:211]
	v_add_f64 v[212:213], v[50:51], v[212:213]
	v_fma_f64 v[230:231], v[73:74], s[16:17], -v[89:90]
	v_fma_f64 v[232:233], v[75:76], s[16:17], v[91:92]
	v_add_f64 v[214:215], v[48:49], v[214:215]
	v_add_f64 v[216:217], v[50:51], v[216:217]
	v_fma_f64 v[89:90], v[73:74], s[16:17], v[89:90]
	v_add_f64 v[129:130], v[48:49], v[129:130]
	v_add_f64 v[136:137], v[48:49], v[136:137]
	;; [unrolled: 1-line block ×7, first 2 shown]
	v_fma_f64 v[91:92], v[75:76], s[16:17], -v[91:92]
	v_add_f64 v[138:139], v[50:51], v[138:139]
	v_add_f64 v[134:135], v[50:51], v[134:135]
	v_fma_f64 v[242:243], v[105:106], s[2:3], -v[164:165]
	v_fma_f64 v[244:245], v[107:108], s[2:3], v[168:169]
	v_fma_f64 v[164:165], v[105:106], s[2:3], v[164:165]
	v_fma_f64 v[168:169], v[107:108], s[2:3], -v[168:169]
	v_fma_f64 v[250:251], v[105:106], s[8:9], -v[101:102]
	v_fma_f64 v[101:102], v[105:106], s[8:9], v[101:102]
	v_mul_f64 v[198:199], v[123:124], s[28:29]
	v_fma_f64 v[246:247], v[109:110], s[12:13], -v[182:183]
	v_add_f64 v[77:78], v[77:78], v[85:86]
	v_add_f64 v[79:80], v[79:80], v[87:88]
	v_fma_f64 v[85:86], v[75:76], s[12:13], -v[154:155]
	v_add_f64 v[83:84], v[48:49], v[83:84]
	v_fma_f64 v[87:88], v[73:74], s[2:3], -v[99:100]
	v_add_f64 v[125:126], v[48:49], v[125:126]
	v_add_f64 v[127:128], v[50:51], v[127:128]
	v_fma_f64 v[154:155], v[75:76], s[2:3], v[97:98]
	v_fma_f64 v[73:74], v[73:74], s[2:3], v[99:100]
	v_fma_f64 v[75:76], v[75:76], s[2:3], -v[97:98]
	v_add_f64 v[48:49], v[48:49], v[69:70]
	v_add_f64 v[69:70], v[50:51], v[71:72]
	;; [unrolled: 1-line block ×4, first 2 shown]
	v_fma_f64 v[97:98], v[105:106], s[12:13], -v[156:157]
	v_fma_f64 v[99:100], v[107:108], s[12:13], v[158:159]
	v_fma_f64 v[156:157], v[105:106], s[12:13], v[156:157]
	v_fma_f64 v[158:159], v[107:108], s[12:13], -v[158:159]
	v_fma_f64 v[121:122], v[105:106], s[14:15], v[170:171]
	v_fma_f64 v[142:143], v[107:108], s[14:15], -v[176:177]
	v_add_f64 v[129:130], v[148:149], v[129:130]
	v_add_f64 v[89:90], v[89:90], v[136:137]
	;; [unrolled: 1-line block ×5, first 2 shown]
	v_fma_f64 v[248:249], v[115:116], s[12:13], v[184:185]
	v_fma_f64 v[182:183], v[109:110], s[12:13], v[182:183]
	v_fma_f64 v[184:185], v[115:116], s[12:13], -v[184:185]
	v_mul_f64 v[202:203], v[123:124], s[24:25]
	v_mul_f64 v[194:195], v[123:124], s[26:27]
	;; [unrolled: 1-line block ×4, first 2 shown]
	v_add_f64 v[64:65], v[77:78], v[64:65]
	v_add_f64 v[66:67], v[79:80], v[66:67]
	v_fma_f64 v[77:78], v[105:106], s[14:15], -v[170:171]
	v_fma_f64 v[79:80], v[107:108], s[14:15], v[176:177]
	v_fma_f64 v[105:106], v[107:108], s[8:9], v[103:104]
	v_fma_f64 v[103:104], v[107:108], s[8:9], -v[103:104]
	v_add_f64 v[83:84], v[93:94], v[83:84]
	v_add_f64 v[93:94], v[144:145], v[125:126]
	;; [unrolled: 1-line block ×15, first 2 shown]
	v_fma_f64 v[170:171], v[109:110], s[14:15], -v[178:179]
	v_fma_f64 v[176:177], v[115:116], s[14:15], v[180:181]
	v_fma_f64 v[178:179], v[109:110], s[14:15], v[178:179]
	v_fma_f64 v[180:181], v[115:116], s[14:15], -v[180:181]
	v_fma_f64 v[85:86], v[109:110], s[2:3], v[186:187]
	v_fma_f64 v[91:92], v[115:116], s[2:3], -v[188:189]
	v_fma_f64 v[95:96], v[109:110], s[16:17], -v[190:191]
	v_fma_f64 v[134:135], v[115:116], s[16:17], v[192:193]
	v_fma_f64 v[138:139], v[109:110], s[16:17], v[190:191]
	v_fma_f64 v[150:151], v[115:116], s[16:17], -v[192:193]
	v_fma_f64 v[192:193], v[109:110], s[8:9], -v[111:112]
	v_add_f64 v[89:90], v[101:102], v[89:90]
	v_add_f64 v[101:102], v[242:243], v[136:137]
	;; [unrolled: 1-line block ×3, first 2 shown]
	v_fma_f64 v[154:155], v[117:118], s[16:17], -v[194:195]
	v_fma_f64 v[190:191], v[119:120], s[16:17], -v[196:197]
	v_fma_f64 v[140:141], v[117:118], s[14:15], v[202:203]
	v_add_f64 v[60:61], v[64:65], v[60:61]
	v_add_f64 v[62:63], v[66:67], v[62:63]
	v_fma_f64 v[64:65], v[109:110], s[2:3], -v[186:187]
	v_fma_f64 v[66:67], v[115:116], s[2:3], v[188:189]
	v_fma_f64 v[109:110], v[109:110], s[8:9], v[111:112]
	;; [unrolled: 1-line block ×3, first 2 shown]
	v_fma_f64 v[113:114], v[115:116], s[8:9], -v[113:114]
	v_add_f64 v[83:84], v[97:98], v[83:84]
	v_add_f64 v[97:98], v[158:159], v[107:108]
	;; [unrolled: 1-line block ×17, first 2 shown]
	v_fma_f64 v[99:100], v[117:118], s[14:15], -v[202:203]
	v_fma_f64 v[103:104], v[119:120], s[14:15], v[204:205]
	v_fma_f64 v[156:157], v[117:118], s[8:9], -v[123:124]
	v_fma_f64 v[158:159], v[119:120], s[8:9], v[81:82]
	;; [unrolled: 2-line block ×3, first 2 shown]
	v_fma_f64 v[186:187], v[119:120], s[16:17], v[196:197]
	v_fma_f64 v[87:88], v[117:118], s[2:3], v[198:199]
	v_fma_f64 v[121:122], v[119:120], s[2:3], -v[200:201]
	v_add_f64 v[101:102], v[95:96], v[101:102]
	v_fma_f64 v[142:143], v[119:120], s[14:15], -v[204:205]
	v_fma_f64 v[148:149], v[117:118], s[12:13], v[206:207]
	v_fma_f64 v[152:153], v[119:120], s[12:13], -v[208:209]
	v_fma_f64 v[81:82], v[119:120], s[8:9], -v[81:82]
	v_add_f64 v[56:57], v[60:61], v[56:57]
	v_add_f64 v[58:59], v[62:63], v[58:59]
	v_fma_f64 v[60:61], v[117:118], s[2:3], -v[198:199]
	v_fma_f64 v[62:63], v[119:120], s[2:3], v[200:201]
	v_add_f64 v[85:86], v[85:86], v[89:90]
	v_fma_f64 v[188:189], v[117:118], s[16:17], v[194:195]
	v_fma_f64 v[117:118], v[117:118], s[8:9], v[123:124]
	v_add_f64 v[83:84], v[170:171], v[83:84]
	v_add_f64 v[123:124], v[138:139], v[136:137]
	;; [unrolled: 1-line block ×18, first 2 shown]
	v_lshl_add_u32 v168, v0, 4, v2
	s_load_b64 s[2:3], s[0:1], 0x38
	v_add_f64 v[125:126], v[56:57], v[52:53]
	v_add_f64 v[127:128], v[58:59], v[54:55]
	v_add_f64 v[48:49], v[154:155], v[83:84]
	v_add_f64 v[52:53], v[60:61], v[107:108]
	v_add_f64 v[54:55], v[62:63], v[115:116]
	v_add_f64 v[56:57], v[99:100], v[64:65]
	v_add_f64 v[58:59], v[103:104], v[66:67]
	v_add_f64 v[60:61], v[156:157], v[101:102]
	v_add_f64 v[62:63], v[158:159], v[105:106]
	v_add_f64 v[64:65], v[144:145], v[77:78]
	v_add_f64 v[66:67], v[146:147], v[79:80]
	v_add_f64 v[112:113], v[87:88], v[119:120]
	v_add_f64 v[88:89], v[140:141], v[85:86]
	v_add_f64 v[84:85], v[148:149], v[109:110]
	v_add_f64 v[86:87], v[152:153], v[69:70]
	v_add_f64 v[100:101], v[117:118], v[123:124]
	v_add_f64 v[102:103], v[81:82], v[71:72]
	v_add_f64 v[90:91], v[142:143], v[73:74]
	v_add_f64 v[114:115], v[121:122], v[75:76]
	v_add_f64 v[92:93], v[188:189], v[93:94]
	v_add_f64 v[94:95], v[190:191], v[97:98]
	v_add_f64 v[50:51], v[186:187], v[50:51]
	v_add_f64 v[44:45], v[125:126], v[44:45]
	v_add_f64 v[46:47], v[127:128], v[46:47]
                                        ; implicit-def: $vgpr128_vgpr129
	ds_store_b128 v168, v[52:55] offset:32
	ds_store_b128 v168, v[56:59] offset:48
	;; [unrolled: 1-line block ×9, first 2 shown]
	ds_store_b128 v168, v[44:47]
	ds_store_b128 v168, v[48:51] offset:16
	s_waitcnt lgkmcnt(0)
	s_barrier
	buffer_gl0_inv
	ds_load_b128 v[96:99], v174
	ds_load_b128 v[116:119], v174 offset:1936
	ds_load_b128 v[104:107], v174 offset:3872
	;; [unrolled: 1-line block ×5, first 2 shown]
	s_and_saveexec_b32 s0, vcc_lo
	s_cbranch_execz .LBB0_3
; %bb.2:
	ds_load_b128 v[84:87], v174 offset:1056
	ds_load_b128 v[100:103], v174 offset:2992
	;; [unrolled: 1-line block ×6, first 2 shown]
.LBB0_3:
	s_or_b32 exec_lo, exec_lo, s0
	v_and_b32_e32 v0, 0xff, v173
	v_add_nc_u16 v1, v173, 0x42
	s_mov_b32 s0, 0xe8584caa
	s_mov_b32 s1, 0x3febb67a
	;; [unrolled: 1-line block ×3, first 2 shown]
	v_mul_lo_u16 v0, 0x75, v0
	v_and_b32_e32 v2, 0xff, v1
	s_mov_b32 s8, s0
	s_delay_alu instid0(VALU_DEP_2) | instskip(NEXT) | instid1(VALU_DEP_2)
	v_lshrrev_b16 v0, 8, v0
	v_mul_lo_u16 v2, 0x75, v2
	s_delay_alu instid0(VALU_DEP_2) | instskip(NEXT) | instid1(VALU_DEP_2)
	v_sub_nc_u16 v3, v173, v0
	v_lshrrev_b16 v2, 8, v2
	s_delay_alu instid0(VALU_DEP_2) | instskip(NEXT) | instid1(VALU_DEP_2)
	v_lshrrev_b16 v3, 1, v3
	v_sub_nc_u16 v4, v1, v2
	s_delay_alu instid0(VALU_DEP_2) | instskip(NEXT) | instid1(VALU_DEP_2)
	v_and_b32_e32 v3, 0x7f, v3
	v_lshrrev_b16 v4, 1, v4
	s_delay_alu instid0(VALU_DEP_2) | instskip(NEXT) | instid1(VALU_DEP_2)
	v_add_nc_u16 v0, v3, v0
	v_and_b32_e32 v3, 0x7f, v4
	s_delay_alu instid0(VALU_DEP_2) | instskip(NEXT) | instid1(VALU_DEP_2)
	v_lshrrev_b16 v0, 3, v0
	v_add_nc_u16 v2, v3, v2
	s_delay_alu instid0(VALU_DEP_2) | instskip(NEXT) | instid1(VALU_DEP_2)
	v_mul_lo_u16 v3, v0, 11
	v_lshrrev_b16 v2, 3, v2
	v_and_b32_e32 v0, 0xffff, v0
	s_delay_alu instid0(VALU_DEP_3) | instskip(NEXT) | instid1(VALU_DEP_3)
	v_sub_nc_u16 v3, v173, v3
	v_mul_lo_u16 v4, v2, 11
	s_delay_alu instid0(VALU_DEP_3) | instskip(NEXT) | instid1(VALU_DEP_3)
	v_mul_u32_u24_e32 v0, 0x42, v0
	v_and_b32_e32 v3, 0xff, v3
	s_delay_alu instid0(VALU_DEP_3) | instskip(NEXT) | instid1(VALU_DEP_2)
	v_sub_nc_u16 v1, v1, v4
	v_mad_u64_u32 v[52:53], null, 0x50, v3, s[10:11]
	s_delay_alu instid0(VALU_DEP_2) | instskip(SKIP_1) | instid1(VALU_DEP_2)
	v_and_b32_e32 v1, 0xff, v1
	v_add_nc_u32_e32 v0, v0, v3
	v_mad_u64_u32 v[54:55], null, 0x50, v1, s[10:11]
	scratch_store_b32 off, v1, off offset:204 ; 4-byte Folded Spill
	s_clause 0x9
	global_load_b128 v[64:67], v[52:53], off offset:32
	global_load_b128 v[68:71], v[52:53], off offset:64
	;; [unrolled: 1-line block ×4, first 2 shown]
	global_load_b128 v[72:75], v[52:53], off
	global_load_b128 v[8:11], v[54:55], off
	global_load_b128 v[80:83], v[52:53], off offset:16
	global_load_b128 v[76:79], v[52:53], off offset:48
	;; [unrolled: 1-line block ×4, first 2 shown]
	scratch_load_b32 v1, off, off           ; 4-byte Folded Reload
	s_waitcnt vmcnt(10) lgkmcnt(2)
	v_mul_f64 v[134:135], v[122:123], v[66:67]
	v_mul_f64 v[136:137], v[120:121], v[66:67]
	s_waitcnt vmcnt(9) lgkmcnt(0)
	v_mul_f64 v[138:139], v[124:125], v[70:71]
	v_mul_f64 v[140:141], v[126:127], v[70:71]
	s_waitcnt vmcnt(8)
	v_mul_f64 v[142:143], v[114:115], v[6:7]
	v_mul_f64 v[144:145], v[112:113], v[6:7]
	s_waitcnt vmcnt(7)
	;; [unrolled: 3-line block ×5, first 2 shown]
	v_mul_f64 v[158:159], v[94:95], v[14:15]
	v_mul_f64 v[160:161], v[92:93], v[14:15]
	s_clause 0x2
	scratch_store_b128 off, v[4:7], off offset:212
	scratch_store_b128 off, v[12:15], off offset:244
	;; [unrolled: 1-line block ×3, first 2 shown]
	v_fma_f64 v[134:135], v[120:121], v[64:65], -v[134:135]
	v_fma_f64 v[136:137], v[122:123], v[64:65], v[136:137]
	v_fma_f64 v[138:139], v[126:127], v[68:69], v[138:139]
	v_fma_f64 v[140:141], v[124:125], v[68:69], -v[140:141]
	v_mul_f64 v[124:125], v[102:103], v[10:11]
	v_mul_f64 v[126:127], v[100:101], v[10:11]
	v_fma_f64 v[120:121], v[112:113], v[4:5], -v[142:143]
	v_fma_f64 v[122:123], v[114:115], v[4:5], v[144:145]
	v_fma_f64 v[112:113], v[128:129], v[60:61], -v[146:147]
	v_fma_f64 v[114:115], v[130:131], v[60:61], v[148:149]
	v_mul_f64 v[128:129], v[106:107], v[82:83]
	v_mul_f64 v[130:131], v[104:105], v[82:83]
	;; [unrolled: 1-line block ×4, first 2 shown]
	v_fma_f64 v[146:147], v[116:117], v[72:73], -v[150:151]
	v_fma_f64 v[148:149], v[118:119], v[72:73], v[152:153]
	v_add_f64 v[150:151], v[136:137], v[138:139]
	v_add_f64 v[152:153], v[134:135], v[140:141]
	v_fma_f64 v[116:117], v[100:101], v[8:9], -v[124:125]
	v_fma_f64 v[118:119], v[102:103], v[8:9], v[126:127]
	v_add_f64 v[162:163], v[136:137], -v[138:139]
	v_add_f64 v[164:165], v[134:135], -v[140:141]
	v_add_f64 v[100:101], v[120:121], v[112:113]
	v_add_f64 v[102:103], v[122:123], v[114:115]
	v_fma_f64 v[126:127], v[104:105], v[80:81], -v[128:129]
	v_fma_f64 v[130:131], v[106:107], v[80:81], v[130:131]
	v_fma_f64 v[142:143], v[108:109], v[76:77], -v[142:143]
	v_fma_f64 v[144:145], v[110:111], v[76:77], v[144:145]
	;; [unrolled: 2-line block ×4, first 2 shown]
	v_add_f64 v[124:125], v[122:123], -v[114:115]
	v_add_f64 v[128:129], v[120:121], -v[112:113]
	v_add_f64 v[134:135], v[146:147], v[134:135]
	v_add_f64 v[136:137], v[148:149], v[136:137]
	v_fma_f64 v[150:151], v[150:151], -0.5, v[148:149]
	v_fma_f64 v[152:153], v[152:153], -0.5, v[146:147]
	;; [unrolled: 1-line block ×4, first 2 shown]
	v_add_f64 v[169:170], v[98:99], v[130:131]
	v_add_f64 v[92:93], v[126:127], v[142:143]
	v_add_f64 v[94:95], v[130:131], v[144:145]
	v_add_f64 v[148:149], v[126:127], -v[142:143]
	v_add_f64 v[154:155], v[104:105], v[88:89]
	v_add_f64 v[156:157], v[106:107], v[90:91]
	v_fma_f64 v[100:101], v[164:165], s[8:9], v[150:151]
	v_fma_f64 v[102:103], v[162:163], s[8:9], v[152:153]
	;; [unrolled: 1-line block ×4, first 2 shown]
	v_add_f64 v[162:163], v[96:97], v[126:127]
	v_add_f64 v[164:165], v[130:131], -v[144:145]
	v_fma_f64 v[158:159], v[124:125], s[8:9], v[108:109]
	v_fma_f64 v[160:161], v[128:129], s[0:1], v[110:111]
	v_add_f64 v[126:127], v[106:107], -v[90:91]
	v_add_f64 v[130:131], v[104:105], -v[88:89]
	v_fma_f64 v[146:147], v[92:93], -0.5, v[96:97]
	v_fma_f64 v[94:95], v[94:95], -0.5, v[98:99]
	v_add_f64 v[144:145], v[169:170], v[144:145]
	v_add_f64 v[169:170], v[136:137], v[138:139]
	v_fma_f64 v[92:93], v[154:155], -0.5, v[84:85]
	v_fma_f64 v[96:97], v[156:157], -0.5, v[86:87]
	v_mul_f64 v[98:99], v[100:101], s[0:1]
	v_mul_f64 v[177:178], v[102:103], -0.5
	v_mul_f64 v[181:182], v[150:151], -0.5
	v_mul_f64 v[179:180], v[152:153], s[8:9]
	v_add_f64 v[142:143], v[162:163], v[142:143]
	v_add_f64 v[162:163], v[134:135], v[140:141]
	v_mul_f64 v[154:155], v[158:159], -0.5
	v_mul_f64 v[156:157], v[160:161], -0.5
	v_fma_f64 v[183:184], v[164:165], s[0:1], v[146:147]
	v_fma_f64 v[164:165], v[164:165], s[8:9], v[146:147]
	;; [unrolled: 1-line block ×6, first 2 shown]
	v_add_f64 v[140:141], v[144:145], v[169:170]
	v_add_f64 v[144:145], v[144:145], -v[169:170]
	v_fma_f64 v[189:190], v[152:153], 0.5, v[98:99]
	v_fma_f64 v[177:178], v[150:151], s[0:1], v[177:178]
	v_fma_f64 v[102:103], v[102:103], s[8:9], v[181:182]
	v_fma_f64 v[100:101], v[100:101], 0.5, v[179:180]
	v_add_f64 v[138:139], v[142:143], v[162:163]
	v_fma_f64 v[98:99], v[160:161], s[0:1], v[154:155]
	v_fma_f64 v[136:137], v[158:159], s[8:9], v[156:157]
	v_add_f64 v[142:143], v[142:143], -v[162:163]
	v_add_f64 v[146:147], v[183:184], v[189:190]
	v_add_f64 v[150:151], v[164:165], v[177:178]
	;; [unrolled: 1-line block ×4, first 2 shown]
	v_add_f64 v[154:155], v[183:184], -v[189:190]
	v_add_f64 v[156:157], v[185:186], -v[100:101]
	;; [unrolled: 1-line block ×6, first 2 shown]
	s_waitcnt vmcnt(0)
	v_lshl_add_u32 v178, v0, 4, v1
	v_and_b32_e32 v0, 0xffff, v2
	s_clause 0x1
	scratch_store_b128 off, v[8:11], off offset:228
	scratch_store_b128 off, v[4:7], off offset:4
	s_waitcnt_vscnt null, 0x0
	s_barrier
	buffer_gl0_inv
	ds_store_b128 v178, v[138:141]
	ds_store_b128 v178, v[146:149] offset:176
	scratch_store_b32 off, v0, off offset:208 ; 4-byte Folded Spill
	ds_store_b128 v178, v[150:153] offset:352
	ds_store_b128 v178, v[142:145] offset:528
	;; [unrolled: 1-line block ×4, first 2 shown]
	s_and_saveexec_b32 s8, vcc_lo
	s_cbranch_execz .LBB0_5
; %bb.4:
	s_clause 0x1
	scratch_load_b32 v0, off, off offset:208
	scratch_load_b32 v1, off, off offset:204
	v_mul_f64 v[124:125], v[124:125], s[0:1]
	v_mul_f64 v[128:129], v[128:129], s[0:1]
	v_add_f64 v[86:87], v[86:87], v[106:107]
	v_add_f64 v[106:107], v[118:119], v[122:123]
	;; [unrolled: 1-line block ×4, first 2 shown]
	v_mul_f64 v[116:117], v[130:131], s[0:1]
	v_mul_f64 v[120:121], v[126:127], s[0:1]
	v_add_f64 v[108:109], v[124:125], v[108:109]
	v_add_f64 v[110:111], v[110:111], -v[128:129]
	v_add_f64 v[124:125], v[86:87], v[90:91]
	v_add_f64 v[106:107], v[106:107], v[114:115]
	v_add_f64 v[114:115], v[84:85], v[88:89]
	v_add_f64 v[104:105], v[104:105], v[112:113]
	v_add_f64 v[96:97], v[96:97], -v[116:117]
	v_add_f64 v[112:113], v[120:121], v[92:93]
	v_add_f64 v[86:87], v[134:135], v[136:137]
	;; [unrolled: 1-line block ×3, first 2 shown]
	v_mul_f64 v[118:119], v[108:109], s[0:1]
	v_mul_f64 v[122:123], v[110:111], s[0:1]
	v_add_f64 v[90:91], v[124:125], -v[106:107]
	v_add_f64 v[94:95], v[124:125], v[106:107]
	v_add_f64 v[88:89], v[114:115], -v[104:105]
	v_add_f64 v[92:93], v[114:115], v[104:105]
	v_fma_f64 v[110:111], v[110:111], 0.5, -v[118:119]
	v_fma_f64 v[108:109], v[108:109], 0.5, v[122:123]
	s_delay_alu instid0(VALU_DEP_2) | instskip(NEXT) | instid1(VALU_DEP_2)
	v_add_f64 v[106:107], v[96:97], v[110:111]
	v_add_f64 v[104:105], v[112:113], v[108:109]
	v_add_f64 v[98:99], v[96:97], -v[110:111]
	v_add_f64 v[96:97], v[112:113], -v[108:109]
	s_waitcnt vmcnt(1)
	v_mul_u32_u24_e32 v0, 0x42, v0
	s_waitcnt vmcnt(0)
	s_delay_alu instid0(VALU_DEP_1)
	v_add_nc_u32_e32 v0, v0, v1
	scratch_load_b32 v1, off, off           ; 4-byte Folded Reload
	s_waitcnt vmcnt(0)
	v_lshl_add_u32 v0, v0, 4, v1
	ds_store_b128 v0, v[84:87] offset:352
	ds_store_b128 v0, v[88:91] offset:528
	ds_store_b128 v0, v[92:95]
	ds_store_b128 v0, v[104:107] offset:176
	ds_store_b128 v0, v[96:99] offset:704
	scratch_load_b128 v[1:4], off, off offset:4 ; 16-byte Folded Reload
	s_waitcnt vmcnt(0)
	ds_store_b128 v0, v[1:4] offset:880
.LBB0_5:
	s_or_b32 exec_lo, exec_lo, s8
	v_mad_u64_u32 v[120:121], null, 0xa0, v173, s[10:11]
	s_waitcnt lgkmcnt(0)
	s_waitcnt_vscnt null, 0x0
	s_barrier
	buffer_gl0_inv
	s_mov_b32 s26, 0xf8bb580b
	s_mov_b32 s14, 0x8eee2c13
	;; [unrolled: 1-line block ×3, first 2 shown]
	s_clause 0x3
	global_load_b128 v[88:91], v[120:121], off offset:880
	global_load_b128 v[84:87], v[120:121], off offset:1024
	;; [unrolled: 1-line block ×4, first 2 shown]
	ds_load_b128 v[104:107], v174 offset:1056
	ds_load_b128 v[179:182], v174
	ds_load_b128 v[108:111], v174 offset:10560
	s_mov_b32 s10, 0xbb3a28a1
	s_mov_b32 s8, 0xfd768dbf
	;; [unrolled: 1-line block ×25, first 2 shown]
	s_waitcnt vmcnt(3) lgkmcnt(2)
	v_mul_f64 v[112:113], v[106:107], v[90:91]
	v_mul_f64 v[114:115], v[104:105], v[90:91]
	s_waitcnt vmcnt(2) lgkmcnt(0)
	v_mul_f64 v[116:117], v[108:109], v[86:87]
	s_delay_alu instid0(VALU_DEP_3) | instskip(SKIP_1) | instid1(VALU_DEP_4)
	v_fma_f64 v[169:170], v[104:105], v[88:89], -v[112:113]
	v_mul_f64 v[104:105], v[110:111], v[86:87]
	v_fma_f64 v[187:188], v[106:107], v[88:89], v[114:115]
	s_delay_alu instid0(VALU_DEP_4) | instskip(NEXT) | instid1(VALU_DEP_3)
	v_fma_f64 v[128:129], v[110:111], v[84:85], v[116:117]
	v_fma_f64 v[130:131], v[108:109], v[84:85], -v[104:105]
	ds_load_b128 v[104:107], v174 offset:2112
	ds_load_b128 v[112:115], v174 offset:3168
	v_add_f64 v[215:216], v[187:188], v[128:129]
	v_add_f64 v[227:228], v[181:182], v[187:188]
	s_waitcnt vmcnt(1) lgkmcnt(1)
	v_mul_f64 v[108:109], v[106:107], v[94:95]
	v_add_f64 v[195:196], v[169:170], v[130:131]
	s_delay_alu instid0(VALU_DEP_2) | instskip(SKIP_1) | instid1(VALU_DEP_1)
	v_fma_f64 v[138:139], v[104:105], v[92:93], -v[108:109]
	v_mul_f64 v[104:105], v[104:105], v[94:95]
	v_fma_f64 v[140:141], v[106:107], v[92:93], v[104:105]
	ds_load_b128 v[104:107], v174 offset:9504
	ds_load_b128 v[122:125], v174 offset:8448
	s_waitcnt vmcnt(0) lgkmcnt(1)
	v_mul_f64 v[108:109], v[104:105], v[98:99]
	s_delay_alu instid0(VALU_DEP_1) | instskip(SKIP_1) | instid1(VALU_DEP_2)
	v_fma_f64 v[134:135], v[106:107], v[96:97], v[108:109]
	v_mul_f64 v[106:107], v[106:107], v[98:99]
	v_add_f64 v[237:238], v[140:141], v[134:135]
	s_delay_alu instid0(VALU_DEP_2)
	v_fma_f64 v[136:137], v[104:105], v[96:97], -v[106:107]
	s_clause 0x1
	global_load_b128 v[108:111], v[120:121], off offset:912
	global_load_b128 v[104:107], v[120:121], off offset:928
	v_add_f64 v[231:232], v[138:139], v[136:137]
	v_add_f64 v[235:236], v[138:139], -v[136:137]
	s_delay_alu instid0(VALU_DEP_1) | instskip(SKIP_3) | instid1(VALU_DEP_3)
	v_mul_f64 v[239:240], v[235:236], s[14:15]
	v_mul_f64 v[20:21], v[235:236], s[10:11]
	;; [unrolled: 1-line block ×4, first 2 shown]
	v_fma_f64 v[22:23], v[237:238], s[18:19], v[20:21]
	s_delay_alu instid0(VALU_DEP_3) | instskip(NEXT) | instid1(VALU_DEP_3)
	v_fma_f64 v[38:39], v[237:238], s[12:13], v[36:37]
	v_fma_f64 v[50:51], v[237:238], s[22:23], v[48:49]
	s_waitcnt vmcnt(1)
	v_mul_f64 v[116:117], v[114:115], v[110:111]
	s_delay_alu instid0(VALU_DEP_1) | instskip(SKIP_1) | instid1(VALU_DEP_1)
	v_fma_f64 v[146:147], v[112:113], v[108:109], -v[116:117]
	v_mul_f64 v[112:113], v[112:113], v[110:111]
	v_fma_f64 v[148:149], v[114:115], v[108:109], v[112:113]
	s_clause 0x1
	global_load_b128 v[116:119], v[120:121], off offset:992
	global_load_b128 v[112:115], v[120:121], off offset:976
	s_waitcnt vmcnt(1) lgkmcnt(0)
	v_mul_f64 v[126:127], v[122:123], v[118:119]
	s_delay_alu instid0(VALU_DEP_1) | instskip(SKIP_1) | instid1(VALU_DEP_2)
	v_fma_f64 v[142:143], v[124:125], v[116:117], v[126:127]
	v_mul_f64 v[124:125], v[124:125], v[118:119]
	v_add_f64 v[241:242], v[148:149], -v[142:143]
	s_delay_alu instid0(VALU_DEP_2)
	v_fma_f64 v[144:145], v[122:123], v[116:117], -v[124:125]
	ds_load_b128 v[122:125], v174 offset:4224
	ds_load_b128 v[160:163], v174 offset:5280
	v_add_f64 v[249:250], v[148:149], v[142:143]
	s_waitcnt lgkmcnt(1)
	v_mul_f64 v[126:127], v[124:125], v[106:107]
	v_mul_f64 v[245:246], v[241:242], s[16:17]
	v_add_f64 v[243:244], v[146:147], v[144:145]
	v_add_f64 v[247:248], v[146:147], -v[144:145]
	v_mul_f64 v[24:25], v[241:242], s[28:29]
	v_mul_f64 v[40:41], v[241:242], s[36:37]
	v_fma_f64 v[152:153], v[122:123], v[104:105], -v[126:127]
	v_mul_f64 v[122:123], v[122:123], v[106:107]
	v_mul_f64 v[251:252], v[247:248], s[16:17]
	;; [unrolled: 1-line block ×3, first 2 shown]
	v_fma_f64 v[26:27], v[243:244], s[12:13], -v[24:25]
	v_mul_f64 v[100:101], v[247:248], s[36:37]
	v_fma_f64 v[42:43], v[243:244], s[20:21], -v[40:41]
	v_mul_f64 v[52:53], v[247:248], s[26:27]
	v_fma_f64 v[154:155], v[124:125], v[104:105], v[122:123]
	ds_load_b128 v[122:125], v174 offset:7392
	ds_load_b128 v[183:186], v174 offset:6336
	v_fma_f64 v[30:31], v[249:250], s[12:13], v[28:29]
	s_waitcnt vmcnt(0) lgkmcnt(1)
	v_mul_f64 v[126:127], v[122:123], v[114:115]
	v_fma_f64 v[102:103], v[249:250], s[20:21], v[100:101]
	v_fma_f64 v[54:55], v[249:250], s[24:25], v[52:53]
	s_delay_alu instid0(VALU_DEP_3) | instskip(SKIP_1) | instid1(VALU_DEP_2)
	v_fma_f64 v[150:151], v[124:125], v[112:113], v[126:127]
	v_mul_f64 v[124:125], v[124:125], v[114:115]
	v_add_f64 v[253:254], v[154:155], -v[150:151]
	s_delay_alu instid0(VALU_DEP_2)
	v_fma_f64 v[156:157], v[122:123], v[112:113], -v[124:125]
	s_clause 0x1
	global_load_b128 v[124:127], v[120:121], off offset:944
	global_load_b128 v[120:123], v[120:121], off offset:960
	v_add_f64 v[2:3], v[154:155], v[150:151]
	v_mul_f64 v[171:172], v[253:254], s[10:11]
	v_add_f64 v[176:177], v[152:153], v[156:157]
	v_add_f64 v[0:1], v[152:153], -v[156:157]
	s_delay_alu instid0(VALU_DEP_1)
	v_mul_f64 v[4:5], v[0:1], s[10:11]
	v_mul_f64 v[32:33], v[0:1], s[30:31]
	;; [unrolled: 1-line block ×5, first 2 shown]
	v_fma_f64 v[6:7], v[2:3], s[18:19], -v[4:5]
	v_fma_f64 v[34:35], v[2:3], s[22:23], v[32:33]
	s_delay_alu instid0(VALU_DEP_4) | instskip(SKIP_4) | instid1(VALU_DEP_2)
	v_fma_f64 v[58:59], v[2:3], s[12:13], v[56:57]
	s_waitcnt vmcnt(1)
	v_mul_f64 v[158:159], v[162:163], v[126:127]
	s_waitcnt vmcnt(0) lgkmcnt(0)
	v_mul_f64 v[164:165], v[183:184], v[122:123]
	v_fma_f64 v[158:159], v[160:161], v[124:125], -v[158:159]
	v_mul_f64 v[160:161], v[160:161], v[126:127]
	s_delay_alu instid0(VALU_DEP_3) | instskip(NEXT) | instid1(VALU_DEP_2)
	v_fma_f64 v[164:165], v[185:186], v[120:121], v[164:165]
	v_fma_f64 v[160:161], v[162:163], v[124:125], v[160:161]
	v_mul_f64 v[162:163], v[185:186], v[122:123]
	s_delay_alu instid0(VALU_DEP_2) | instskip(NEXT) | instid1(VALU_DEP_2)
	v_add_f64 v[8:9], v[160:161], -v[164:165]
	v_fma_f64 v[162:163], v[183:184], v[120:121], -v[162:163]
	v_add_f64 v[183:184], v[187:188], -v[128:129]
	v_add_f64 v[16:17], v[160:161], v[164:165]
	s_delay_alu instid0(VALU_DEP_4) | instskip(NEXT) | instid1(VALU_DEP_4)
	v_mul_f64 v[12:13], v[8:9], s[8:9]
	v_add_f64 v[10:11], v[158:159], v[162:163]
	s_delay_alu instid0(VALU_DEP_4)
	v_mul_f64 v[185:186], v[183:184], s[26:27]
	v_mul_f64 v[189:190], v[183:184], s[14:15]
	;; [unrolled: 1-line block ×6, first 2 shown]
	v_fma_f64 v[14:15], v[10:11], s[12:13], v[12:13]
	v_fma_f64 v[197:198], v[195:196], s[24:25], -v[185:186]
	v_fma_f64 v[185:186], v[195:196], s[24:25], v[185:186]
	v_fma_f64 v[199:200], v[195:196], s[20:21], -v[189:190]
	;; [unrolled: 2-line block ×5, first 2 shown]
	v_fma_f64 v[183:184], v[195:196], s[12:13], v[183:184]
	v_add_f64 v[195:196], v[169:170], -v[130:131]
	v_add_f64 v[169:170], v[179:180], v[169:170]
	v_fma_f64 v[46:47], v[10:11], s[18:19], -v[44:45]
	v_add_f64 v[185:186], v[179:180], v[185:186]
	v_add_f64 v[205:206], v[179:180], v[205:206]
	v_mul_f64 v[207:208], v[195:196], s[26:27]
	v_mul_f64 v[209:210], v[195:196], s[14:15]
	;; [unrolled: 1-line block ×5, first 2 shown]
	v_fma_f64 v[217:218], v[215:216], s[24:25], -v[207:208]
	v_fma_f64 v[219:220], v[215:216], s[20:21], v[209:210]
	v_fma_f64 v[221:222], v[215:216], s[22:23], v[211:212]
	;; [unrolled: 1-line block ×4, first 2 shown]
	v_fma_f64 v[195:196], v[215:216], s[12:13], -v[195:196]
	v_fma_f64 v[209:210], v[215:216], s[20:21], -v[209:210]
	;; [unrolled: 1-line block ×3, first 2 shown]
	v_fma_f64 v[223:224], v[215:216], s[18:19], v[213:214]
	v_fma_f64 v[213:214], v[215:216], s[18:19], -v[213:214]
	v_add_f64 v[215:216], v[179:180], v[197:198]
	v_add_f64 v[197:198], v[179:180], v[199:200]
	;; [unrolled: 1-line block ×9, first 2 shown]
	v_add_f64 v[195:196], v[140:141], -v[134:135]
	v_add_f64 v[217:218], v[181:182], v[207:208]
	v_add_f64 v[229:230], v[181:182], v[209:210]
	;; [unrolled: 1-line block ×9, first 2 shown]
	v_fma_f64 v[181:182], v[237:238], s[20:21], -v[239:240]
	v_fma_f64 v[183:184], v[243:244], s[22:23], v[245:246]
	v_add_f64 v[22:23], v[22:23], v[199:200]
	v_mul_f64 v[199:200], v[235:236], s[34:35]
	v_add_f64 v[38:39], v[38:39], v[201:202]
	v_mul_f64 v[201:202], v[241:242], s[10:11]
	v_mul_f64 v[233:234], v[195:196], s[14:15]
	v_add_f64 v[50:51], v[50:51], v[203:204]
	v_mul_f64 v[203:204], v[241:242], s[26:27]
	v_add_f64 v[181:182], v[181:182], v[187:188]
	v_add_f64 v[22:23], v[30:31], v[22:23]
	v_mul_f64 v[30:31], v[253:254], s[30:31]
	v_add_f64 v[38:39], v[102:103], v[38:39]
	v_mul_f64 v[102:103], v[253:254], s[26:27]
	v_fma_f64 v[179:180], v[231:232], s[20:21], v[233:234]
	v_add_f64 v[50:51], v[54:55], v[50:51]
	v_mul_f64 v[54:55], v[253:254], s[8:9]
	v_add_f64 v[22:23], v[34:35], v[22:23]
	v_mul_f64 v[34:35], v[8:9], s[34:35]
	v_add_f64 v[179:180], v[179:180], v[185:186]
	v_add_f64 v[50:51], v[58:59], v[50:51]
	v_mul_f64 v[58:59], v[8:9], s[36:37]
	v_mul_f64 v[8:9], v[8:9], s[16:17]
	s_delay_alu instid0(VALU_DEP_4) | instskip(SKIP_1) | instid1(VALU_DEP_1)
	v_add_f64 v[179:180], v[183:184], v[179:180]
	v_fma_f64 v[183:184], v[249:250], s[22:23], -v[251:252]
	v_add_f64 v[181:182], v[183:184], v[181:182]
	v_fma_f64 v[183:184], v[176:177], s[18:19], v[171:172]
	s_delay_alu instid0(VALU_DEP_2) | instskip(NEXT) | instid1(VALU_DEP_2)
	v_add_f64 v[6:7], v[6:7], v[181:182]
	v_add_f64 v[179:180], v[183:184], v[179:180]
	s_delay_alu instid0(VALU_DEP_1) | instskip(SKIP_1) | instid1(VALU_DEP_1)
	v_add_f64 v[179:180], v[14:15], v[179:180]
	v_add_f64 v[14:15], v[158:159], -v[162:163]
	v_mul_f64 v[18:19], v[14:15], s[8:9]
	s_delay_alu instid0(VALU_DEP_1) | instskip(NEXT) | instid1(VALU_DEP_1)
	v_fma_f64 v[181:182], v[16:17], s[12:13], -v[18:19]
	v_add_f64 v[181:182], v[181:182], v[6:7]
	v_mul_f64 v[6:7], v[195:196], s[10:11]
	s_delay_alu instid0(VALU_DEP_1) | instskip(NEXT) | instid1(VALU_DEP_1)
	v_fma_f64 v[183:184], v[231:232], s[18:19], -v[6:7]
	v_add_f64 v[183:184], v[183:184], v[197:198]
	v_fma_f64 v[197:198], v[237:238], s[24:25], v[199:200]
	v_fma_f64 v[199:200], v[237:238], s[24:25], -v[199:200]
	s_delay_alu instid0(VALU_DEP_3) | instskip(SKIP_1) | instid1(VALU_DEP_4)
	v_add_f64 v[26:27], v[26:27], v[183:184]
	v_fma_f64 v[183:184], v[176:177], s[22:23], -v[30:31]
	v_add_f64 v[197:198], v[197:198], v[221:222]
	s_delay_alu instid0(VALU_DEP_4) | instskip(NEXT) | instid1(VALU_DEP_3)
	v_add_f64 v[199:200], v[199:200], v[225:226]
	v_add_f64 v[26:27], v[183:184], v[26:27]
	v_fma_f64 v[183:184], v[10:11], s[24:25], -v[34:35]
	s_delay_alu instid0(VALU_DEP_1) | instskip(SKIP_1) | instid1(VALU_DEP_1)
	v_add_f64 v[183:184], v[183:184], v[26:27]
	v_mul_f64 v[26:27], v[14:15], s[34:35]
	v_fma_f64 v[185:186], v[16:17], s[24:25], v[26:27]
	s_delay_alu instid0(VALU_DEP_1) | instskip(SKIP_1) | instid1(VALU_DEP_1)
	v_add_f64 v[185:186], v[185:186], v[22:23]
	v_mul_f64 v[22:23], v[195:196], s[28:29]
	v_fma_f64 v[187:188], v[231:232], s[12:13], -v[22:23]
	s_delay_alu instid0(VALU_DEP_1) | instskip(NEXT) | instid1(VALU_DEP_1)
	v_add_f64 v[187:188], v[187:188], v[189:190]
	v_add_f64 v[42:43], v[42:43], v[187:188]
	v_fma_f64 v[187:188], v[176:177], s[24:25], -v[102:103]
	s_delay_alu instid0(VALU_DEP_1) | instskip(SKIP_1) | instid1(VALU_DEP_1)
	v_add_f64 v[42:43], v[187:188], v[42:43]
	v_fma_f64 v[187:188], v[2:3], s[24:25], v[166:167]
	v_add_f64 v[38:39], v[187:188], v[38:39]
	s_delay_alu instid0(VALU_DEP_3) | instskip(SKIP_1) | instid1(VALU_DEP_1)
	v_add_f64 v[187:188], v[46:47], v[42:43]
	v_mul_f64 v[42:43], v[14:15], s[10:11]
	v_fma_f64 v[46:47], v[16:17], s[18:19], v[42:43]
	s_delay_alu instid0(VALU_DEP_1) | instskip(SKIP_1) | instid1(VALU_DEP_1)
	v_add_f64 v[189:190], v[46:47], v[38:39]
	v_mul_f64 v[38:39], v[195:196], s[30:31]
	v_fma_f64 v[46:47], v[231:232], s[22:23], -v[38:39]
	s_delay_alu instid0(VALU_DEP_1) | instskip(SKIP_1) | instid1(VALU_DEP_1)
	v_add_f64 v[46:47], v[46:47], v[191:192]
	v_fma_f64 v[191:192], v[243:244], s[24:25], -v[203:204]
	v_add_f64 v[46:47], v[191:192], v[46:47]
	v_fma_f64 v[191:192], v[176:177], s[12:13], -v[54:55]
	s_delay_alu instid0(VALU_DEP_1) | instskip(SKIP_1) | instid1(VALU_DEP_1)
	v_add_f64 v[46:47], v[191:192], v[46:47]
	v_fma_f64 v[191:192], v[10:11], s[20:21], -v[58:59]
	v_add_f64 v[191:192], v[191:192], v[46:47]
	v_mul_f64 v[46:47], v[14:15], s[36:37]
	v_mul_f64 v[14:15], v[14:15], s[16:17]
	s_delay_alu instid0(VALU_DEP_2) | instskip(NEXT) | instid1(VALU_DEP_1)
	v_fma_f64 v[193:194], v[16:17], s[20:21], v[46:47]
	v_add_f64 v[193:194], v[193:194], v[50:51]
	v_mul_f64 v[50:51], v[195:196], s[34:35]
	s_delay_alu instid0(VALU_DEP_1) | instskip(SKIP_1) | instid1(VALU_DEP_2)
	v_fma_f64 v[195:196], v[231:232], s[24:25], -v[50:51]
	v_fma_f64 v[50:51], v[231:232], s[24:25], v[50:51]
	v_add_f64 v[195:196], v[195:196], v[205:206]
	v_fma_f64 v[205:206], v[243:244], s[18:19], -v[201:202]
	s_delay_alu instid0(VALU_DEP_3) | instskip(SKIP_1) | instid1(VALU_DEP_3)
	v_add_f64 v[50:51], v[50:51], v[223:224]
	v_fma_f64 v[201:202], v[243:244], s[18:19], v[201:202]
	v_add_f64 v[195:196], v[205:206], v[195:196]
	v_mul_f64 v[205:206], v[247:248], s[10:11]
	s_delay_alu instid0(VALU_DEP_3) | instskip(NEXT) | instid1(VALU_DEP_2)
	v_add_f64 v[50:51], v[201:202], v[50:51]
	v_fma_f64 v[221:222], v[249:250], s[18:19], v[205:206]
	v_fma_f64 v[201:202], v[249:250], s[18:19], -v[205:206]
	s_delay_alu instid0(VALU_DEP_2) | instskip(SKIP_1) | instid1(VALU_DEP_3)
	v_add_f64 v[197:198], v[221:222], v[197:198]
	v_mul_f64 v[221:222], v[253:254], s[36:37]
	v_add_f64 v[199:200], v[201:202], v[199:200]
	s_delay_alu instid0(VALU_DEP_2) | instskip(SKIP_1) | instid1(VALU_DEP_2)
	v_fma_f64 v[235:236], v[176:177], s[20:21], -v[221:222]
	v_fma_f64 v[201:202], v[176:177], s[20:21], v[221:222]
	v_add_f64 v[195:196], v[235:236], v[195:196]
	v_fma_f64 v[235:236], v[2:3], s[20:21], v[0:1]
	v_fma_f64 v[0:1], v[2:3], s[20:21], -v[0:1]
	s_delay_alu instid0(VALU_DEP_4) | instskip(NEXT) | instid1(VALU_DEP_3)
	v_add_f64 v[50:51], v[201:202], v[50:51]
	v_add_f64 v[197:198], v[235:236], v[197:198]
	v_fma_f64 v[235:236], v[10:11], s[22:23], -v[8:9]
	s_delay_alu instid0(VALU_DEP_4) | instskip(SKIP_1) | instid1(VALU_DEP_3)
	v_add_f64 v[0:1], v[0:1], v[199:200]
	v_fma_f64 v[8:9], v[10:11], s[22:23], v[8:9]
	v_add_f64 v[195:196], v[235:236], v[195:196]
	v_fma_f64 v[235:236], v[16:17], s[22:23], v[14:15]
	v_fma_f64 v[14:15], v[16:17], s[22:23], -v[14:15]
	s_delay_alu instid0(VALU_DEP_4) | instskip(SKIP_1) | instid1(VALU_DEP_4)
	v_add_f64 v[199:200], v[8:9], v[50:51]
	v_fma_f64 v[8:9], v[237:238], s[22:23], -v[48:49]
	v_add_f64 v[197:198], v[235:236], v[197:198]
	s_delay_alu instid0(VALU_DEP_4) | instskip(SKIP_4) | instid1(VALU_DEP_4)
	v_add_f64 v[201:202], v[14:15], v[0:1]
	v_fma_f64 v[0:1], v[231:232], s[22:23], v[38:39]
	v_fma_f64 v[14:15], v[243:244], s[24:25], v[203:204]
	v_add_f64 v[8:9], v[8:9], v[213:214]
	v_fma_f64 v[38:39], v[16:17], s[20:21], -v[46:47]
	v_add_f64 v[0:1], v[0:1], v[211:212]
	s_delay_alu instid0(VALU_DEP_1) | instskip(SKIP_1) | instid1(VALU_DEP_1)
	v_add_f64 v[0:1], v[14:15], v[0:1]
	v_fma_f64 v[14:15], v[249:250], s[24:25], -v[52:53]
	v_add_f64 v[8:9], v[14:15], v[8:9]
	v_fma_f64 v[14:15], v[176:177], s[12:13], v[54:55]
	s_delay_alu instid0(VALU_DEP_1) | instskip(SKIP_1) | instid1(VALU_DEP_1)
	v_add_f64 v[0:1], v[14:15], v[0:1]
	v_fma_f64 v[14:15], v[2:3], s[12:13], -v[56:57]
	v_add_f64 v[8:9], v[14:15], v[8:9]
	v_fma_f64 v[14:15], v[10:11], s[20:21], v[58:59]
	s_delay_alu instid0(VALU_DEP_2) | instskip(NEXT) | instid1(VALU_DEP_2)
	v_add_f64 v[205:206], v[38:39], v[8:9]
	v_add_f64 v[203:204], v[14:15], v[0:1]
	v_fma_f64 v[0:1], v[231:232], s[12:13], v[22:23]
	v_fma_f64 v[8:9], v[237:238], s[12:13], -v[36:37]
	v_fma_f64 v[14:15], v[243:244], s[20:21], v[40:41]
	v_fma_f64 v[22:23], v[16:17], s[18:19], -v[42:43]
	s_delay_alu instid0(VALU_DEP_4) | instskip(NEXT) | instid1(VALU_DEP_4)
	v_add_f64 v[0:1], v[0:1], v[207:208]
	v_add_f64 v[8:9], v[8:9], v[209:210]
	s_delay_alu instid0(VALU_DEP_2) | instskip(SKIP_1) | instid1(VALU_DEP_1)
	v_add_f64 v[0:1], v[14:15], v[0:1]
	v_fma_f64 v[14:15], v[249:250], s[20:21], -v[100:101]
	v_add_f64 v[8:9], v[14:15], v[8:9]
	v_fma_f64 v[14:15], v[176:177], s[24:25], v[102:103]
	s_delay_alu instid0(VALU_DEP_1) | instskip(SKIP_1) | instid1(VALU_DEP_1)
	v_add_f64 v[0:1], v[14:15], v[0:1]
	v_fma_f64 v[14:15], v[2:3], s[24:25], -v[166:167]
	v_add_f64 v[8:9], v[14:15], v[8:9]
	v_fma_f64 v[14:15], v[10:11], s[18:19], v[44:45]
	s_delay_alu instid0(VALU_DEP_2) | instskip(NEXT) | instid1(VALU_DEP_2)
	v_add_f64 v[209:210], v[22:23], v[8:9]
	v_add_f64 v[207:208], v[14:15], v[0:1]
	v_fma_f64 v[0:1], v[231:232], s[18:19], v[6:7]
	v_fma_f64 v[6:7], v[237:238], s[18:19], -v[20:21]
	v_fma_f64 v[8:9], v[243:244], s[12:13], v[24:25]
	v_fma_f64 v[14:15], v[16:17], s[24:25], -v[26:27]
	v_fma_f64 v[20:21], v[176:177], s[18:19], -v[171:172]
	v_add_f64 v[0:1], v[0:1], v[219:220]
	v_add_f64 v[6:7], v[6:7], v[229:230]
	s_delay_alu instid0(VALU_DEP_2) | instskip(SKIP_1) | instid1(VALU_DEP_1)
	v_add_f64 v[0:1], v[8:9], v[0:1]
	v_fma_f64 v[8:9], v[249:250], s[12:13], -v[28:29]
	v_add_f64 v[6:7], v[8:9], v[6:7]
	v_fma_f64 v[8:9], v[176:177], s[22:23], v[30:31]
	s_delay_alu instid0(VALU_DEP_1) | instskip(SKIP_2) | instid1(VALU_DEP_2)
	v_add_f64 v[0:1], v[8:9], v[0:1]
	v_fma_f64 v[8:9], v[2:3], s[22:23], -v[32:33]
	v_fma_f64 v[2:3], v[2:3], s[18:19], v[4:5]
	v_add_f64 v[6:7], v[8:9], v[6:7]
	v_fma_f64 v[8:9], v[10:11], s[24:25], v[34:35]
	s_delay_alu instid0(VALU_DEP_2) | instskip(NEXT) | instid1(VALU_DEP_2)
	v_add_f64 v[213:214], v[14:15], v[6:7]
	v_add_f64 v[211:212], v[8:9], v[0:1]
	v_fma_f64 v[0:1], v[231:232], s[20:21], -v[233:234]
	v_fma_f64 v[6:7], v[237:238], s[20:21], v[239:240]
	v_fma_f64 v[8:9], v[243:244], s[22:23], -v[245:246]
	v_fma_f64 v[14:15], v[249:250], s[22:23], v[251:252]
	s_delay_alu instid0(VALU_DEP_4) | instskip(NEXT) | instid1(VALU_DEP_4)
	v_add_f64 v[0:1], v[0:1], v[215:216]
	v_add_f64 v[6:7], v[6:7], v[217:218]
	s_delay_alu instid0(VALU_DEP_2) | instskip(NEXT) | instid1(VALU_DEP_2)
	v_add_f64 v[0:1], v[8:9], v[0:1]
	v_add_f64 v[4:5], v[14:15], v[6:7]
	v_fma_f64 v[6:7], v[10:11], s[12:13], -v[12:13]
	v_fma_f64 v[8:9], v[16:17], s[12:13], v[18:19]
	s_delay_alu instid0(VALU_DEP_4) | instskip(NEXT) | instid1(VALU_DEP_4)
	v_add_f64 v[0:1], v[20:21], v[0:1]
	v_add_f64 v[2:3], v[2:3], v[4:5]
	s_delay_alu instid0(VALU_DEP_2) | instskip(NEXT) | instid1(VALU_DEP_2)
	v_add_f64 v[215:216], v[6:7], v[0:1]
	v_add_f64 v[217:218], v[8:9], v[2:3]
	;; [unrolled: 1-line block ×4, first 2 shown]
	s_delay_alu instid0(VALU_DEP_2) | instskip(NEXT) | instid1(VALU_DEP_2)
	v_add_f64 v[0:1], v[0:1], v[146:147]
	v_add_f64 v[2:3], v[2:3], v[148:149]
	s_delay_alu instid0(VALU_DEP_2) | instskip(NEXT) | instid1(VALU_DEP_2)
	v_add_f64 v[0:1], v[0:1], v[152:153]
	v_add_f64 v[2:3], v[2:3], v[154:155]
	;; [unrolled: 3-line block ×8, first 2 shown]
	v_add_co_u32 v0, s0, 0x2d60, v255
	s_delay_alu instid0(VALU_DEP_1)
	v_add_co_ci_u32_e64 v1, s0, 0, v175, s0
	ds_store_b128 v174, v[183:186] offset:2112
	ds_store_b128 v174, v[187:190] offset:3168
	;; [unrolled: 1-line block ×10, first 2 shown]
	ds_store_b128 v174, v[134:137]
	s_waitcnt lgkmcnt(0)
	s_barrier
	buffer_gl0_inv
	s_clause 0x1
	global_load_b128 v[128:131], v[132:133], off offset:3424
	global_load_b128 v[132:135], v[0:1], off offset:1056
	ds_load_b128 v[136:139], v174
	ds_load_b128 v[140:143], v174 offset:1056
	s_waitcnt vmcnt(1) lgkmcnt(1)
	v_mul_f64 v[2:3], v[138:139], v[130:131]
	v_mul_f64 v[4:5], v[136:137], v[130:131]
	s_delay_alu instid0(VALU_DEP_2) | instskip(NEXT) | instid1(VALU_DEP_2)
	v_fma_f64 v[136:137], v[136:137], v[128:129], -v[2:3]
	v_fma_f64 v[138:139], v[138:139], v[128:129], v[4:5]
	s_waitcnt vmcnt(0) lgkmcnt(0)
	v_mul_f64 v[2:3], v[142:143], v[134:135]
	v_mul_f64 v[4:5], v[140:141], v[134:135]
	s_delay_alu instid0(VALU_DEP_2) | instskip(NEXT) | instid1(VALU_DEP_2)
	v_fma_f64 v[128:129], v[140:141], v[132:133], -v[2:3]
	v_fma_f64 v[130:131], v[142:143], v[132:133], v[4:5]
	s_clause 0x1
	global_load_b128 v[132:135], v[0:1], off offset:2112
	global_load_b128 v[140:143], v[0:1], off offset:3168
	ds_load_b128 v[144:147], v174 offset:2112
	ds_load_b128 v[148:151], v174 offset:3168
	s_waitcnt vmcnt(1) lgkmcnt(1)
	v_mul_f64 v[0:1], v[146:147], v[134:135]
	v_mul_f64 v[2:3], v[144:145], v[134:135]
	s_delay_alu instid0(VALU_DEP_2) | instskip(SKIP_2) | instid1(VALU_DEP_3)
	v_fma_f64 v[144:145], v[144:145], v[132:133], -v[0:1]
	s_waitcnt vmcnt(0) lgkmcnt(0)
	v_mul_f64 v[0:1], v[150:151], v[142:143]
	v_fma_f64 v[146:147], v[146:147], v[132:133], v[2:3]
	v_mul_f64 v[2:3], v[148:149], v[142:143]
	s_delay_alu instid0(VALU_DEP_3) | instskip(SKIP_1) | instid1(VALU_DEP_1)
	v_fma_f64 v[132:133], v[148:149], v[140:141], -v[0:1]
	v_add_co_u32 v0, s0, 0x3000, v255
	v_add_co_ci_u32_e64 v1, s0, 0, v175, s0
	s_delay_alu instid0(VALU_DEP_4) | instskip(SKIP_1) | instid1(VALU_DEP_1)
	v_fma_f64 v[134:135], v[150:151], v[140:141], v[2:3]
	v_add_co_u32 v2, s0, 0x4000, v255
	v_add_co_ci_u32_e64 v3, s0, 0, v175, s0
	s_clause 0x1
	global_load_b128 v[140:143], v[0:1], off offset:3552
	global_load_b128 v[148:151], v[2:3], off offset:512
	ds_load_b128 v[152:155], v174 offset:4224
	ds_load_b128 v[156:159], v174 offset:5280
	s_waitcnt vmcnt(1) lgkmcnt(1)
	v_mul_f64 v[0:1], v[154:155], v[142:143]
	v_mul_f64 v[4:5], v[152:153], v[142:143]
	s_delay_alu instid0(VALU_DEP_2) | instskip(NEXT) | instid1(VALU_DEP_2)
	v_fma_f64 v[152:153], v[152:153], v[140:141], -v[0:1]
	v_fma_f64 v[154:155], v[154:155], v[140:141], v[4:5]
	s_waitcnt vmcnt(0) lgkmcnt(0)
	v_mul_f64 v[0:1], v[158:159], v[150:151]
	v_mul_f64 v[4:5], v[156:157], v[150:151]
	s_delay_alu instid0(VALU_DEP_2) | instskip(NEXT) | instid1(VALU_DEP_2)
	v_fma_f64 v[140:141], v[156:157], v[148:149], -v[0:1]
	v_fma_f64 v[142:143], v[158:159], v[148:149], v[4:5]
	s_clause 0x1
	global_load_b128 v[148:151], v[2:3], off offset:1568
	global_load_b128 v[156:159], v[2:3], off offset:2624
	ds_load_b128 v[160:163], v174 offset:6336
	ds_load_b128 v[179:182], v174 offset:7392
	s_waitcnt vmcnt(1) lgkmcnt(1)
	v_mul_f64 v[0:1], v[162:163], v[150:151]
	v_mul_f64 v[4:5], v[160:161], v[150:151]
	s_delay_alu instid0(VALU_DEP_2) | instskip(SKIP_2) | instid1(VALU_DEP_3)
	v_fma_f64 v[160:161], v[160:161], v[148:149], -v[0:1]
	s_waitcnt vmcnt(0) lgkmcnt(0)
	v_mul_f64 v[0:1], v[181:182], v[158:159]
	v_fma_f64 v[162:163], v[162:163], v[148:149], v[4:5]
	v_mul_f64 v[4:5], v[179:180], v[158:159]
	s_delay_alu instid0(VALU_DEP_3) | instskip(SKIP_1) | instid1(VALU_DEP_1)
	v_fma_f64 v[148:149], v[179:180], v[156:157], -v[0:1]
	v_add_co_u32 v0, s0, 0x5000, v255
	v_add_co_ci_u32_e64 v1, s0, 0, v175, s0
	s_delay_alu instid0(VALU_DEP_4)
	v_fma_f64 v[150:151], v[181:182], v[156:157], v[4:5]
	s_clause 0x1
	global_load_b128 v[156:159], v[2:3], off offset:3680
	global_load_b128 v[164:167], v[0:1], off offset:640
	ds_load_b128 v[179:182], v174 offset:8448
	ds_load_b128 v[183:186], v174 offset:9504
	s_mov_b32 s0, s10
	s_waitcnt vmcnt(1) lgkmcnt(1)
	v_mul_f64 v[2:3], v[181:182], v[158:159]
	v_mul_f64 v[4:5], v[179:180], v[158:159]
	s_delay_alu instid0(VALU_DEP_2) | instskip(NEXT) | instid1(VALU_DEP_2)
	v_fma_f64 v[179:180], v[179:180], v[156:157], -v[2:3]
	v_fma_f64 v[181:182], v[181:182], v[156:157], v[4:5]
	s_waitcnt vmcnt(0) lgkmcnt(0)
	v_mul_f64 v[2:3], v[185:186], v[166:167]
	v_mul_f64 v[4:5], v[183:184], v[166:167]
	s_delay_alu instid0(VALU_DEP_2) | instskip(NEXT) | instid1(VALU_DEP_2)
	v_fma_f64 v[156:157], v[183:184], v[164:165], -v[2:3]
	v_fma_f64 v[158:159], v[185:186], v[164:165], v[4:5]
	global_load_b128 v[164:167], v[0:1], off offset:1696
	ds_load_b128 v[183:186], v174 offset:10560
	s_waitcnt vmcnt(0) lgkmcnt(0)
	v_mul_f64 v[0:1], v[185:186], v[166:167]
	v_mul_f64 v[2:3], v[183:184], v[166:167]
	s_delay_alu instid0(VALU_DEP_2) | instskip(NEXT) | instid1(VALU_DEP_2)
	v_fma_f64 v[183:184], v[183:184], v[164:165], -v[0:1]
	v_fma_f64 v[185:186], v[185:186], v[164:165], v[2:3]
	ds_store_b128 v174, v[136:139]
	ds_store_b128 v174, v[128:131] offset:1056
	ds_store_b128 v174, v[144:147] offset:2112
	;; [unrolled: 1-line block ×10, first 2 shown]
	s_waitcnt lgkmcnt(0)
	s_barrier
	buffer_gl0_inv
	ds_load_b128 v[128:131], v174
	ds_load_b128 v[132:135], v174 offset:1056
	ds_load_b128 v[136:139], v174 offset:2112
	;; [unrolled: 1-line block ×7, first 2 shown]
	s_waitcnt lgkmcnt(6)
	v_add_f64 v[0:1], v[128:129], v[132:133]
	v_add_f64 v[2:3], v[130:131], v[134:135]
	s_waitcnt lgkmcnt(1)
	v_add_f64 v[4:5], v[148:149], v[152:153]
	v_add_f64 v[6:7], v[150:151], v[154:155]
	v_add_f64 v[8:9], v[148:149], -v[152:153]
	v_add_f64 v[10:11], v[150:151], -v[154:155]
	s_waitcnt lgkmcnt(0)
	v_add_f64 v[12:13], v[144:145], v[156:157]
	v_add_f64 v[14:15], v[146:147], v[158:159]
	v_add_f64 v[16:17], v[146:147], -v[158:159]
	v_add_f64 v[18:19], v[144:145], -v[156:157]
	v_add_f64 v[0:1], v[0:1], v[136:137]
	v_add_f64 v[2:3], v[2:3], v[138:139]
	v_mul_f64 v[175:176], v[10:11], s[34:35]
	v_mul_f64 v[191:192], v[10:11], s[10:11]
	;; [unrolled: 1-line block ×15, first 2 shown]
	v_add_f64 v[0:1], v[0:1], v[140:141]
	v_add_f64 v[2:3], v[2:3], v[142:143]
	s_delay_alu instid0(VALU_DEP_2) | instskip(NEXT) | instid1(VALU_DEP_2)
	v_add_f64 v[0:1], v[0:1], v[144:145]
	v_add_f64 v[2:3], v[2:3], v[146:147]
	s_delay_alu instid0(VALU_DEP_2) | instskip(NEXT) | instid1(VALU_DEP_2)
	v_add_f64 v[0:1], v[0:1], v[148:149]
	v_add_f64 v[2:3], v[2:3], v[150:151]
	ds_load_b128 v[144:147], v174 offset:8448
	ds_load_b128 v[148:151], v174 offset:9504
	s_waitcnt lgkmcnt(1)
	v_add_f64 v[24:25], v[140:141], v[144:145]
	s_waitcnt lgkmcnt(0)
	v_add_f64 v[28:29], v[138:139], -v[150:151]
	v_add_f64 v[30:31], v[138:139], v[150:151]
	v_add_f64 v[32:33], v[136:137], v[148:149]
	v_add_f64 v[34:35], v[136:137], -v[148:149]
	ds_load_b128 v[136:139], v174 offset:10560
	v_add_f64 v[26:27], v[140:141], -v[144:145]
	v_add_f64 v[20:21], v[142:143], -v[146:147]
	v_add_f64 v[22:23], v[142:143], v[146:147]
	s_waitcnt lgkmcnt(0)
	s_barrier
	buffer_gl0_inv
	v_add_f64 v[0:1], v[0:1], v[152:153]
	v_add_f64 v[2:3], v[2:3], v[154:155]
	v_add_f64 v[36:37], v[134:135], -v[138:139]
	v_add_f64 v[38:39], v[134:135], v[138:139]
	v_add_f64 v[40:41], v[132:133], v[136:137]
	v_add_f64 v[42:43], v[132:133], -v[136:137]
	v_mul_f64 v[179:180], v[28:29], s[28:29]
	v_mul_f64 v[142:143], v[30:31], s[18:19]
	;; [unrolled: 1-line block ×8, first 2 shown]
	v_add_f64 v[0:1], v[0:1], v[156:157]
	v_add_f64 v[2:3], v[2:3], v[158:159]
	v_mul_f64 v[44:45], v[36:37], s[16:17]
	v_mul_f64 v[46:47], v[36:37], s[10:11]
	;; [unrolled: 1-line block ×5, first 2 shown]
	v_add_f64 v[0:1], v[0:1], v[144:145]
	v_add_f64 v[2:3], v[2:3], v[146:147]
	v_mul_f64 v[144:145], v[20:21], s[28:29]
	v_mul_f64 v[146:147], v[22:23], s[12:13]
	;; [unrolled: 1-line block ×3, first 2 shown]
	v_fma_f64 v[52:53], v[40:41], s[22:23], v[44:45]
	v_fma_f64 v[44:45], v[40:41], s[22:23], -v[44:45]
	v_fma_f64 v[54:55], v[40:41], s[18:19], v[46:47]
	v_fma_f64 v[46:47], v[40:41], s[18:19], -v[46:47]
	v_fma_f64 v[134:135], v[42:43], s[36:37], v[58:59]
	v_fma_f64 v[58:59], v[42:43], s[14:15], v[58:59]
	v_add_f64 v[0:1], v[0:1], v[148:149]
	v_add_f64 v[2:3], v[2:3], v[150:151]
	;; [unrolled: 1-line block ×9, first 2 shown]
	v_mul_f64 v[0:1], v[36:37], s[26:27]
	v_mul_f64 v[2:3], v[36:37], s[14:15]
	;; [unrolled: 1-line block ×3, first 2 shown]
	v_fma_f64 v[136:137], v[42:43], s[30:31], v[100:101]
	v_fma_f64 v[138:139], v[42:43], s[0:1], v[102:103]
	;; [unrolled: 1-line block ×5, first 2 shown]
	v_fma_f64 v[0:1], v[40:41], s[24:25], -v[0:1]
	v_fma_f64 v[50:51], v[40:41], s[20:21], v[2:3]
	v_fma_f64 v[2:3], v[40:41], s[20:21], -v[2:3]
	v_fma_f64 v[56:57], v[40:41], s[12:13], v[36:37]
	v_fma_f64 v[36:37], v[40:41], s[12:13], -v[36:37]
	v_mul_f64 v[40:41], v[38:39], s[24:25]
	v_mul_f64 v[38:39], v[38:39], s[12:13]
	v_add_f64 v[100:101], v[130:131], v[100:101]
	v_add_f64 v[102:103], v[130:131], v[102:103]
	;; [unrolled: 1-line block ×7, first 2 shown]
	v_fma_f64 v[132:133], v[42:43], s[26:27], v[40:41]
	v_fma_f64 v[140:141], v[42:43], s[28:29], v[38:39]
	;; [unrolled: 1-line block ×4, first 2 shown]
	v_add_f64 v[42:43], v[128:129], v[48:49]
	v_add_f64 v[48:49], v[130:131], v[132:133]
	;; [unrolled: 1-line block ×6, first 2 shown]
	v_mul_f64 v[140:141], v[28:29], s[10:11]
	v_add_f64 v[40:41], v[130:131], v[40:41]
	v_add_f64 v[38:39], v[130:131], v[38:39]
	v_fma_f64 v[130:131], v[24:25], s[12:13], v[144:145]
	s_delay_alu instid0(VALU_DEP_4) | instskip(NEXT) | instid1(VALU_DEP_1)
	v_fma_f64 v[128:129], v[32:33], s[18:19], v[140:141]
	v_add_f64 v[50:51], v[128:129], v[50:51]
	v_fma_f64 v[128:129], v[34:35], s[0:1], v[142:143]
	s_delay_alu instid0(VALU_DEP_2) | instskip(NEXT) | instid1(VALU_DEP_2)
	v_add_f64 v[50:51], v[130:131], v[50:51]
	v_add_f64 v[128:129], v[128:129], v[132:133]
	v_fma_f64 v[130:131], v[26:27], s[8:9], v[146:147]
	v_mul_f64 v[132:133], v[28:29], s[30:31]
	s_delay_alu instid0(VALU_DEP_2) | instskip(SKIP_1) | instid1(VALU_DEP_1)
	v_add_f64 v[128:129], v[130:131], v[128:129]
	v_fma_f64 v[130:131], v[12:13], s[22:23], v[169:170]
	v_add_f64 v[50:51], v[130:131], v[50:51]
	v_fma_f64 v[130:131], v[18:19], s[16:17], v[171:172]
	s_delay_alu instid0(VALU_DEP_1) | instskip(SKIP_1) | instid1(VALU_DEP_1)
	v_add_f64 v[128:129], v[130:131], v[128:129]
	v_fma_f64 v[130:131], v[4:5], s[24:25], v[175:176]
	v_add_f64 v[152:153], v[130:131], v[50:51]
	v_mul_f64 v[50:51], v[6:7], s[24:25]
	s_delay_alu instid0(VALU_DEP_1) | instskip(NEXT) | instid1(VALU_DEP_1)
	v_fma_f64 v[130:131], v[8:9], s[26:27], v[50:51]
	v_add_f64 v[154:155], v[130:131], v[128:129]
	v_fma_f64 v[128:129], v[32:33], s[12:13], v[179:180]
	v_fma_f64 v[130:131], v[24:25], s[20:21], v[183:184]
	s_delay_alu instid0(VALU_DEP_2) | instskip(SKIP_1) | instid1(VALU_DEP_2)
	v_add_f64 v[52:53], v[128:129], v[52:53]
	v_fma_f64 v[128:129], v[34:35], s[8:9], v[181:182]
	v_add_f64 v[52:53], v[130:131], v[52:53]
	s_delay_alu instid0(VALU_DEP_2) | instskip(SKIP_2) | instid1(VALU_DEP_2)
	v_add_f64 v[128:129], v[128:129], v[134:135]
	v_fma_f64 v[130:131], v[26:27], s[14:15], v[185:186]
	v_mul_f64 v[134:135], v[30:31], s[22:23]
	v_add_f64 v[128:129], v[130:131], v[128:129]
	v_fma_f64 v[130:131], v[12:13], s[24:25], v[187:188]
	s_delay_alu instid0(VALU_DEP_1) | instskip(SKIP_1) | instid1(VALU_DEP_1)
	v_add_f64 v[52:53], v[130:131], v[52:53]
	v_fma_f64 v[130:131], v[18:19], s[34:35], v[189:190]
	v_add_f64 v[128:129], v[130:131], v[128:129]
	v_fma_f64 v[130:131], v[4:5], s[18:19], v[191:192]
	s_delay_alu instid0(VALU_DEP_1) | instskip(SKIP_1) | instid1(VALU_DEP_1)
	v_add_f64 v[156:157], v[130:131], v[52:53]
	v_mul_f64 v[52:53], v[6:7], s[18:19]
	v_fma_f64 v[130:131], v[8:9], s[0:1], v[52:53]
	s_delay_alu instid0(VALU_DEP_1) | instskip(SKIP_1) | instid1(VALU_DEP_1)
	v_add_f64 v[158:159], v[130:131], v[128:129]
	v_fma_f64 v[128:129], v[32:33], s[22:23], v[132:133]
	v_add_f64 v[54:55], v[128:129], v[54:55]
	v_fma_f64 v[128:129], v[34:35], s[16:17], v[134:135]
	s_delay_alu instid0(VALU_DEP_1) | instskip(SKIP_2) | instid1(VALU_DEP_2)
	v_add_f64 v[128:129], v[128:129], v[136:137]
	v_mul_f64 v[136:137], v[20:21], s[26:27]
	v_mul_f64 v[20:21], v[20:21], s[16:17]
	v_fma_f64 v[130:131], v[24:25], s[24:25], v[136:137]
	s_delay_alu instid0(VALU_DEP_1) | instskip(SKIP_1) | instid1(VALU_DEP_1)
	v_add_f64 v[54:55], v[130:131], v[54:55]
	v_fma_f64 v[130:131], v[26:27], s[34:35], v[193:194]
	v_add_f64 v[128:129], v[130:131], v[128:129]
	v_fma_f64 v[130:131], v[12:13], s[12:13], v[195:196]
	s_delay_alu instid0(VALU_DEP_1) | instskip(SKIP_1) | instid1(VALU_DEP_1)
	v_add_f64 v[54:55], v[130:131], v[54:55]
	v_fma_f64 v[130:131], v[18:19], s[28:29], v[197:198]
	v_add_f64 v[128:129], v[130:131], v[128:129]
	v_fma_f64 v[130:131], v[4:5], s[20:21], v[199:200]
	s_delay_alu instid0(VALU_DEP_1) | instskip(SKIP_1) | instid1(VALU_DEP_1)
	v_add_f64 v[160:161], v[130:131], v[54:55]
	v_mul_f64 v[54:55], v[6:7], s[20:21]
	v_fma_f64 v[130:131], v[8:9], s[14:15], v[54:55]
	v_fma_f64 v[54:55], v[8:9], s[36:37], v[54:55]
	s_delay_alu instid0(VALU_DEP_2) | instskip(SKIP_1) | instid1(VALU_DEP_1)
	v_add_f64 v[162:163], v[130:131], v[128:129]
	v_mul_f64 v[128:129], v[28:29], s[34:35]
	v_fma_f64 v[130:131], v[32:33], s[24:25], v[128:129]
	v_fma_f64 v[128:129], v[32:33], s[24:25], -v[128:129]
	s_delay_alu instid0(VALU_DEP_2) | instskip(SKIP_1) | instid1(VALU_DEP_3)
	v_add_f64 v[56:57], v[130:131], v[56:57]
	v_mul_f64 v[130:131], v[30:31], s[24:25]
	v_add_f64 v[36:37], v[128:129], v[36:37]
	v_mul_f64 v[30:31], v[30:31], s[20:21]
	s_delay_alu instid0(VALU_DEP_3) | instskip(SKIP_1) | instid1(VALU_DEP_2)
	v_fma_f64 v[164:165], v[34:35], s[26:27], v[130:131]
	v_fma_f64 v[128:129], v[34:35], s[34:35], v[130:131]
	v_add_f64 v[138:139], v[164:165], v[138:139]
	v_fma_f64 v[164:165], v[24:25], s[18:19], v[201:202]
	s_delay_alu instid0(VALU_DEP_3) | instskip(SKIP_1) | instid1(VALU_DEP_3)
	v_add_f64 v[38:39], v[128:129], v[38:39]
	v_fma_f64 v[128:129], v[24:25], s[18:19], -v[201:202]
	v_add_f64 v[56:57], v[164:165], v[56:57]
	v_fma_f64 v[164:165], v[26:27], s[0:1], v[203:204]
	s_delay_alu instid0(VALU_DEP_3) | instskip(SKIP_1) | instid1(VALU_DEP_3)
	v_add_f64 v[36:37], v[128:129], v[36:37]
	v_fma_f64 v[128:129], v[26:27], s[10:11], v[203:204]
	v_add_f64 v[138:139], v[164:165], v[138:139]
	v_fma_f64 v[164:165], v[12:13], s[20:21], v[205:206]
	s_delay_alu instid0(VALU_DEP_3) | instskip(SKIP_1) | instid1(VALU_DEP_3)
	v_add_f64 v[38:39], v[128:129], v[38:39]
	v_fma_f64 v[128:129], v[12:13], s[20:21], -v[205:206]
	v_add_f64 v[56:57], v[164:165], v[56:57]
	v_fma_f64 v[164:165], v[18:19], s[14:15], v[207:208]
	s_delay_alu instid0(VALU_DEP_3) | instskip(SKIP_1) | instid1(VALU_DEP_3)
	v_add_f64 v[36:37], v[128:129], v[36:37]
	v_fma_f64 v[128:129], v[18:19], s[36:37], v[207:208]
	v_add_f64 v[138:139], v[164:165], v[138:139]
	v_fma_f64 v[164:165], v[4:5], s[22:23], v[209:210]
	s_delay_alu instid0(VALU_DEP_3) | instskip(SKIP_1) | instid1(VALU_DEP_3)
	v_add_f64 v[38:39], v[128:129], v[38:39]
	v_fma_f64 v[128:129], v[4:5], s[22:23], -v[209:210]
	v_add_f64 v[164:165], v[164:165], v[56:57]
	v_mul_f64 v[56:57], v[6:7], s[22:23]
	s_delay_alu instid0(VALU_DEP_3) | instskip(SKIP_2) | instid1(VALU_DEP_4)
	v_add_f64 v[128:129], v[128:129], v[36:37]
	v_fma_f64 v[36:37], v[32:33], s[22:23], -v[132:133]
	v_mul_f64 v[6:7], v[6:7], s[12:13]
	v_fma_f64 v[166:167], v[8:9], s[30:31], v[56:57]
	v_fma_f64 v[56:57], v[8:9], s[16:17], v[56:57]
	s_delay_alu instid0(VALU_DEP_4) | instskip(SKIP_1) | instid1(VALU_DEP_4)
	v_add_f64 v[36:37], v[36:37], v[46:47]
	v_fma_f64 v[46:47], v[24:25], s[24:25], -v[136:137]
	v_add_f64 v[166:167], v[166:167], v[138:139]
	s_delay_alu instid0(VALU_DEP_4) | instskip(SKIP_1) | instid1(VALU_DEP_4)
	v_add_f64 v[130:131], v[56:57], v[38:39]
	v_fma_f64 v[38:39], v[34:35], s[30:31], v[134:135]
	v_add_f64 v[36:37], v[46:47], v[36:37]
	v_fma_f64 v[46:47], v[26:27], s[26:27], v[193:194]
	s_delay_alu instid0(VALU_DEP_3) | instskip(NEXT) | instid1(VALU_DEP_1)
	v_add_f64 v[38:39], v[38:39], v[102:103]
	v_add_f64 v[38:39], v[46:47], v[38:39]
	v_fma_f64 v[46:47], v[12:13], s[12:13], -v[195:196]
	s_delay_alu instid0(VALU_DEP_1) | instskip(SKIP_1) | instid1(VALU_DEP_1)
	v_add_f64 v[36:37], v[46:47], v[36:37]
	v_fma_f64 v[46:47], v[18:19], s[8:9], v[197:198]
	v_add_f64 v[38:39], v[46:47], v[38:39]
	v_fma_f64 v[46:47], v[4:5], s[20:21], -v[199:200]
	s_delay_alu instid0(VALU_DEP_2) | instskip(NEXT) | instid1(VALU_DEP_2)
	v_add_f64 v[134:135], v[54:55], v[38:39]
	v_add_f64 v[132:133], v[46:47], v[36:37]
	v_fma_f64 v[36:37], v[32:33], s[12:13], -v[179:180]
	v_fma_f64 v[38:39], v[34:35], s[28:29], v[181:182]
	v_fma_f64 v[46:47], v[8:9], s[10:11], v[52:53]
	s_delay_alu instid0(VALU_DEP_3) | instskip(SKIP_1) | instid1(VALU_DEP_4)
	v_add_f64 v[36:37], v[36:37], v[44:45]
	v_fma_f64 v[44:45], v[24:25], s[20:21], -v[183:184]
	v_add_f64 v[38:39], v[38:39], v[100:101]
	s_delay_alu instid0(VALU_DEP_2) | instskip(SKIP_1) | instid1(VALU_DEP_1)
	v_add_f64 v[36:37], v[44:45], v[36:37]
	v_fma_f64 v[44:45], v[26:27], s[36:37], v[185:186]
	v_add_f64 v[38:39], v[44:45], v[38:39]
	v_fma_f64 v[44:45], v[12:13], s[24:25], -v[187:188]
	s_delay_alu instid0(VALU_DEP_1) | instskip(SKIP_1) | instid1(VALU_DEP_1)
	v_add_f64 v[36:37], v[44:45], v[36:37]
	v_fma_f64 v[44:45], v[18:19], s[26:27], v[189:190]
	v_add_f64 v[38:39], v[44:45], v[38:39]
	v_fma_f64 v[44:45], v[4:5], s[18:19], -v[191:192]
	s_delay_alu instid0(VALU_DEP_2) | instskip(NEXT) | instid1(VALU_DEP_2)
	v_add_f64 v[138:139], v[46:47], v[38:39]
	v_add_f64 v[136:137], v[44:45], v[36:37]
	v_fma_f64 v[36:37], v[32:33], s[18:19], -v[140:141]
	v_fma_f64 v[38:39], v[24:25], s[12:13], -v[144:145]
	v_fma_f64 v[44:45], v[8:9], s[34:35], v[50:51]
	s_delay_alu instid0(VALU_DEP_3) | instskip(SKIP_1) | instid1(VALU_DEP_2)
	v_add_f64 v[2:3], v[36:37], v[2:3]
	v_fma_f64 v[36:37], v[34:35], s[10:11], v[142:143]
	v_add_f64 v[2:3], v[38:39], v[2:3]
	s_delay_alu instid0(VALU_DEP_2) | instskip(SKIP_1) | instid1(VALU_DEP_1)
	v_add_f64 v[36:37], v[36:37], v[58:59]
	v_fma_f64 v[38:39], v[26:27], s[28:29], v[146:147]
	v_add_f64 v[36:37], v[38:39], v[36:37]
	v_fma_f64 v[38:39], v[12:13], s[22:23], -v[169:170]
	s_delay_alu instid0(VALU_DEP_1) | instskip(SKIP_1) | instid1(VALU_DEP_1)
	v_add_f64 v[2:3], v[38:39], v[2:3]
	v_fma_f64 v[38:39], v[18:19], s[30:31], v[171:172]
	v_add_f64 v[36:37], v[38:39], v[36:37]
	v_fma_f64 v[38:39], v[4:5], s[24:25], -v[175:176]
	s_delay_alu instid0(VALU_DEP_2) | instskip(NEXT) | instid1(VALU_DEP_2)
	v_add_f64 v[142:143], v[44:45], v[36:37]
	v_add_f64 v[140:141], v[38:39], v[2:3]
	v_mul_f64 v[2:3], v[28:29], s[14:15]
	v_fma_f64 v[36:37], v[34:35], s[36:37], v[30:31]
	v_fma_f64 v[38:39], v[24:25], s[22:23], v[20:21]
	v_fma_f64 v[20:21], v[24:25], s[22:23], -v[20:21]
	s_delay_alu instid0(VALU_DEP_4) | instskip(NEXT) | instid1(VALU_DEP_4)
	v_fma_f64 v[28:29], v[32:33], s[20:21], v[2:3]
	v_add_f64 v[36:37], v[36:37], v[40:41]
	v_fma_f64 v[2:3], v[32:33], s[20:21], -v[2:3]
	s_delay_alu instid0(VALU_DEP_3) | instskip(NEXT) | instid1(VALU_DEP_2)
	v_add_f64 v[28:29], v[28:29], v[42:43]
	v_add_f64 v[0:1], v[2:3], v[0:1]
	s_delay_alu instid0(VALU_DEP_2) | instskip(SKIP_2) | instid1(VALU_DEP_4)
	v_add_f64 v[28:29], v[38:39], v[28:29]
	v_fma_f64 v[38:39], v[26:27], s[30:31], v[22:23]
	v_fma_f64 v[22:23], v[26:27], s[16:17], v[22:23]
	v_add_f64 v[0:1], v[20:21], v[0:1]
	s_delay_alu instid0(VALU_DEP_3) | instskip(SKIP_2) | instid1(VALU_DEP_2)
	v_add_f64 v[36:37], v[38:39], v[36:37]
	v_fma_f64 v[38:39], v[12:13], s[18:19], v[16:17]
	v_fma_f64 v[12:13], v[12:13], s[18:19], -v[16:17]
	v_add_f64 v[28:29], v[38:39], v[28:29]
	v_fma_f64 v[38:39], v[18:19], s[0:1], v[14:15]
	v_fma_f64 v[14:15], v[18:19], s[10:11], v[14:15]
	s_delay_alu instid0(VALU_DEP_4) | instskip(NEXT) | instid1(VALU_DEP_3)
	v_add_f64 v[0:1], v[12:13], v[0:1]
	v_add_f64 v[36:37], v[38:39], v[36:37]
	v_fma_f64 v[38:39], v[4:5], s[12:13], v[10:11]
	v_fma_f64 v[4:5], v[4:5], s[12:13], -v[10:11]
	s_delay_alu instid0(VALU_DEP_2) | instskip(SKIP_2) | instid1(VALU_DEP_4)
	v_add_f64 v[179:180], v[38:39], v[28:29]
	v_fma_f64 v[28:29], v[8:9], s[28:29], v[6:7]
	v_fma_f64 v[6:7], v[8:9], s[8:9], v[6:7]
	v_add_f64 v[144:145], v[4:5], v[0:1]
	s_delay_alu instid0(VALU_DEP_3) | instskip(SKIP_1) | instid1(VALU_DEP_1)
	v_add_f64 v[181:182], v[28:29], v[36:37]
	v_fma_f64 v[28:29], v[34:35], s[14:15], v[30:31]
	v_add_f64 v[2:3], v[28:29], v[48:49]
	s_delay_alu instid0(VALU_DEP_1) | instskip(NEXT) | instid1(VALU_DEP_1)
	v_add_f64 v[2:3], v[22:23], v[2:3]
	v_add_f64 v[2:3], v[14:15], v[2:3]
	s_delay_alu instid0(VALU_DEP_1)
	v_add_f64 v[146:147], v[6:7], v[2:3]
	ds_store_b128 v168, v[152:155] offset:32
	ds_store_b128 v168, v[156:159] offset:48
	;; [unrolled: 1-line block ×5, first 2 shown]
	ds_store_b128 v168, v[148:151]
	ds_store_b128 v168, v[128:131] offset:96
	ds_store_b128 v168, v[132:135] offset:112
	;; [unrolled: 1-line block ×5, first 2 shown]
	s_waitcnt lgkmcnt(0)
	s_barrier
	buffer_gl0_inv
	ds_load_b128 v[148:151], v174
	ds_load_b128 v[152:155], v174 offset:1936
	ds_load_b128 v[156:159], v174 offset:3872
	;; [unrolled: 1-line block ×5, first 2 shown]
	s_and_saveexec_b32 s0, vcc_lo
	s_cbranch_execz .LBB0_7
; %bb.6:
	ds_load_b128 v[128:131], v174 offset:1056
	ds_load_b128 v[132:135], v174 offset:2992
	;; [unrolled: 1-line block ×6, first 2 shown]
	s_waitcnt lgkmcnt(0)
	scratch_store_b128 off, v[0:3], off offset:4 ; 16-byte Folded Spill
.LBB0_7:
	s_or_b32 exec_lo, exec_lo, s0
	s_waitcnt lgkmcnt(2)
	v_mul_f64 v[0:1], v[66:67], v[164:165]
	s_waitcnt lgkmcnt(0)
	v_mul_f64 v[2:3], v[70:71], v[168:169]
	v_mul_f64 v[4:5], v[74:75], v[152:153]
	;; [unrolled: 1-line block ×9, first 2 shown]
	s_mov_b32 s0, 0xe8584caa
	s_mov_b32 s1, 0xbfebb67a
	;; [unrolled: 1-line block ×4, first 2 shown]
	s_waitcnt_vscnt null, 0x0
	s_barrier
	buffer_gl0_inv
	v_fma_f64 v[0:1], v[64:65], v[166:167], -v[0:1]
	v_fma_f64 v[2:3], v[68:69], v[170:171], -v[2:3]
	;; [unrolled: 1-line block ×3, first 2 shown]
	v_fma_f64 v[6:7], v[64:65], v[164:165], v[6:7]
	v_fma_f64 v[8:9], v[68:69], v[168:169], v[8:9]
	;; [unrolled: 1-line block ×4, first 2 shown]
	v_fma_f64 v[14:15], v[80:81], v[158:159], -v[14:15]
	v_fma_f64 v[16:17], v[76:77], v[160:161], v[16:17]
	v_fma_f64 v[18:19], v[76:77], v[162:163], -v[18:19]
	v_add_f64 v[20:21], v[0:1], v[2:3]
	v_add_f64 v[30:31], v[0:1], -v[2:3]
	v_add_f64 v[0:1], v[4:5], v[0:1]
	v_add_f64 v[22:23], v[6:7], v[8:9]
	v_add_f64 v[24:25], v[6:7], -v[8:9]
	v_add_f64 v[6:7], v[10:11], v[6:7]
	v_add_f64 v[26:27], v[12:13], v[16:17]
	;; [unrolled: 1-line block ×3, first 2 shown]
	v_add_f64 v[34:35], v[14:15], -v[18:19]
	v_add_f64 v[14:15], v[150:151], v[14:15]
	v_fma_f64 v[20:21], v[20:21], -0.5, v[4:5]
	v_add_f64 v[0:1], v[0:1], v[2:3]
	v_fma_f64 v[22:23], v[22:23], -0.5, v[10:11]
	v_add_f64 v[6:7], v[6:7], v[8:9]
	v_fma_f64 v[4:5], v[26:27], -0.5, v[148:149]
	v_fma_f64 v[10:11], v[28:29], -0.5, v[150:151]
	v_add_f64 v[14:15], v[14:15], v[18:19]
	v_fma_f64 v[32:33], v[24:25], s[8:9], v[20:21]
	v_fma_f64 v[20:21], v[24:25], s[0:1], v[20:21]
	v_add_f64 v[24:25], v[148:149], v[12:13]
	v_add_f64 v[12:13], v[12:13], -v[16:17]
	v_fma_f64 v[26:27], v[30:31], s[0:1], v[22:23]
	v_fma_f64 v[22:23], v[30:31], s[8:9], v[22:23]
	;; [unrolled: 1-line block ×4, first 2 shown]
	v_add_f64 v[66:67], v[14:15], v[0:1]
	v_add_f64 v[70:71], v[14:15], -v[0:1]
	v_mul_f64 v[28:29], v[32:33], s[0:1]
	v_mul_f64 v[32:33], v[32:33], 0.5
	v_mul_f64 v[30:31], v[20:21], s[0:1]
	v_mul_f64 v[20:21], v[20:21], -0.5
	v_add_f64 v[16:17], v[24:25], v[16:17]
	v_fma_f64 v[8:9], v[12:13], s[8:9], v[10:11]
	v_fma_f64 v[10:11], v[12:13], s[0:1], v[10:11]
	v_fma_f64 v[12:13], v[26:27], 0.5, v[28:29]
	v_fma_f64 v[24:25], v[26:27], s[8:9], v[32:33]
	v_fma_f64 v[18:19], v[22:23], -0.5, v[30:31]
	v_fma_f64 v[20:21], v[22:23], s[8:9], v[20:21]
	v_add_f64 v[64:65], v[16:17], v[6:7]
	v_add_f64 v[68:69], v[16:17], -v[6:7]
	v_add_f64 v[72:73], v[2:3], v[12:13]
	v_add_f64 v[74:75], v[8:9], v[24:25]
	;; [unrolled: 1-line block ×4, first 2 shown]
	v_add_f64 v[80:81], v[2:3], -v[12:13]
	v_add_f64 v[82:83], v[8:9], -v[24:25]
	;; [unrolled: 1-line block ×4, first 2 shown]
	ds_store_b128 v178, v[64:67]
	ds_store_b128 v178, v[72:75] offset:176
	ds_store_b128 v178, v[76:79] offset:352
	;; [unrolled: 1-line block ×5, first 2 shown]
	s_and_saveexec_b32 s10, vcc_lo
	s_cbranch_execz .LBB0_9
; %bb.8:
	s_clause 0x3
	scratch_load_b128 v[20:23], off, off offset:212
	scratch_load_b128 v[34:37], off, off offset:4
	;; [unrolled: 1-line block ×4, first 2 shown]
	s_waitcnt vmcnt(3)
	v_mul_f64 v[0:1], v[22:23], v[140:141]
	v_mul_f64 v[4:5], v[22:23], v[142:143]
	scratch_load_b128 v[22:25], off, off offset:228 ; 16-byte Folded Reload
	s_waitcnt vmcnt(3)
	v_mul_f64 v[2:3], v[62:63], v[34:35]
	s_waitcnt vmcnt(2)
	v_mul_f64 v[10:11], v[32:33], v[136:137]
	v_mul_f64 v[6:7], v[62:63], v[36:37]
	;; [unrolled: 1-line block ×3, first 2 shown]
	s_waitcnt vmcnt(1)
	v_mul_f64 v[12:13], v[28:29], v[144:145]
	v_mul_f64 v[16:17], v[28:29], v[146:147]
	v_fma_f64 v[0:1], v[20:21], v[142:143], -v[0:1]
	v_fma_f64 v[4:5], v[20:21], v[140:141], v[4:5]
	v_fma_f64 v[2:3], v[60:61], v[36:37], -v[2:3]
	v_fma_f64 v[10:11], v[30:31], v[138:139], -v[10:11]
	v_fma_f64 v[6:7], v[60:61], v[34:35], v[6:7]
	v_fma_f64 v[14:15], v[30:31], v[136:137], v[14:15]
	v_fma_f64 v[12:13], v[26:27], v[146:147], -v[12:13]
	v_fma_f64 v[16:17], v[26:27], v[144:145], v[16:17]
	v_add_f64 v[20:21], v[0:1], v[2:3]
	v_add_f64 v[28:29], v[0:1], -v[2:3]
	v_add_f64 v[34:35], v[130:131], v[10:11]
	v_add_f64 v[26:27], v[10:11], v[12:13]
	;; [unrolled: 1-line block ×3, first 2 shown]
	s_waitcnt vmcnt(0)
	v_mul_f64 v[8:9], v[24:25], v[132:133]
	v_mul_f64 v[18:19], v[24:25], v[134:135]
	v_add_f64 v[24:25], v[4:5], -v[6:7]
	s_delay_alu instid0(VALU_DEP_3) | instskip(NEXT) | instid1(VALU_DEP_3)
	v_fma_f64 v[8:9], v[22:23], v[134:135], -v[8:9]
	v_fma_f64 v[18:19], v[22:23], v[132:133], v[18:19]
	v_add_f64 v[22:23], v[4:5], v[6:7]
	s_delay_alu instid0(VALU_DEP_3)
	v_add_f64 v[0:1], v[8:9], v[0:1]
	v_fma_f64 v[20:21], v[20:21], -0.5, v[8:9]
	v_add_f64 v[8:9], v[10:11], -v[12:13]
	v_add_f64 v[12:13], v[34:35], v[12:13]
	v_fma_f64 v[22:23], v[22:23], -0.5, v[18:19]
	v_add_f64 v[10:11], v[128:129], v[14:15]
	v_add_f64 v[4:5], v[18:19], v[4:5]
	v_fma_f64 v[18:19], v[30:31], -0.5, v[128:129]
	v_add_f64 v[0:1], v[0:1], v[2:3]
	v_fma_f64 v[32:33], v[24:25], s[0:1], v[20:21]
	v_fma_f64 v[20:21], v[24:25], s[8:9], v[20:21]
	v_add_f64 v[24:25], v[14:15], -v[16:17]
	v_fma_f64 v[14:15], v[26:27], -0.5, v[130:131]
	v_fma_f64 v[26:27], v[28:29], s[8:9], v[22:23]
	v_fma_f64 v[22:23], v[28:29], s[0:1], v[22:23]
	v_add_f64 v[2:3], v[10:11], v[16:17]
	v_add_f64 v[4:5], v[4:5], v[6:7]
	v_add_f64 v[46:47], v[12:13], -v[0:1]
	v_add_f64 v[50:51], v[12:13], v[0:1]
	s_clause 0x1
	scratch_load_b32 v0, off, off offset:208
	scratch_load_b32 v1, off, off offset:204
	v_mul_f64 v[28:29], v[20:21], 0.5
	v_mul_f64 v[20:21], v[20:21], s[0:1]
	v_mul_f64 v[30:31], v[32:33], -0.5
	v_mul_f64 v[32:33], v[32:33], s[0:1]
	v_fma_f64 v[6:7], v[24:25], s[0:1], v[14:15]
	v_fma_f64 v[10:11], v[24:25], s[8:9], v[14:15]
	;; [unrolled: 1-line block ×4, first 2 shown]
	v_add_f64 v[48:49], v[2:3], v[4:5]
	v_add_f64 v[44:45], v[2:3], -v[4:5]
	v_fma_f64 v[18:19], v[22:23], s[8:9], v[28:29]
	v_fma_f64 v[20:21], v[22:23], 0.5, v[20:21]
	v_fma_f64 v[16:17], v[26:27], s[8:9], v[30:31]
	v_fma_f64 v[22:23], v[26:27], -0.5, v[32:33]
	s_delay_alu instid0(VALU_DEP_4) | instskip(NEXT) | instid1(VALU_DEP_4)
	v_add_f64 v[62:63], v[10:11], v[18:19]
	v_add_f64 v[60:61], v[8:9], v[20:21]
	s_delay_alu instid0(VALU_DEP_4) | instskip(NEXT) | instid1(VALU_DEP_4)
	v_add_f64 v[58:59], v[6:7], v[16:17]
	v_add_f64 v[56:57], v[14:15], v[22:23]
	v_add_f64 v[66:67], v[10:11], -v[18:19]
	v_add_f64 v[64:65], v[8:9], -v[20:21]
	;; [unrolled: 1-line block ×4, first 2 shown]
	s_waitcnt vmcnt(1)
	v_mul_u32_u24_e32 v0, 0x42, v0
	s_waitcnt vmcnt(0)
	s_delay_alu instid0(VALU_DEP_1)
	v_add_nc_u32_e32 v0, v0, v1
	scratch_load_b32 v1, off, off           ; 4-byte Folded Reload
	s_waitcnt vmcnt(0)
	v_lshl_add_u32 v0, v0, 4, v1
	ds_store_b128 v0, v[48:51]
	ds_store_b128 v0, v[60:63] offset:176
	ds_store_b128 v0, v[56:59] offset:352
	;; [unrolled: 1-line block ×5, first 2 shown]
.LBB0_9:
	s_or_b32 exec_lo, exec_lo, s10
	s_waitcnt lgkmcnt(0)
	s_barrier
	buffer_gl0_inv
	ds_load_b128 v[44:47], v174 offset:1056
	ds_load_b128 v[52:55], v174 offset:10560
	;; [unrolled: 1-line block ×9, first 2 shown]
	s_mov_b32 s0, 0xf8bb580b
	s_mov_b32 s8, 0x8764f0ba
	;; [unrolled: 1-line block ×15, first 2 shown]
	s_waitcnt lgkmcnt(7)
	v_mul_f64 v[4:5], v[86:87], v[52:53]
	s_waitcnt lgkmcnt(6)
	v_mul_f64 v[6:7], v[94:95], v[56:57]
	v_mul_f64 v[0:1], v[90:91], v[46:47]
	;; [unrolled: 1-line block ×3, first 2 shown]
	s_waitcnt lgkmcnt(5)
	v_mul_f64 v[8:9], v[98:99], v[60:61]
	v_mul_f64 v[10:11], v[94:95], v[58:59]
	s_waitcnt lgkmcnt(4)
	v_mul_f64 v[12:13], v[110:111], v[64:65]
	s_waitcnt lgkmcnt(3)
	v_mul_f64 v[14:15], v[118:119], v[68:69]
	v_mul_f64 v[18:19], v[110:111], v[66:67]
	;; [unrolled: 1-line block ×3, first 2 shown]
	s_waitcnt lgkmcnt(2)
	v_mul_f64 v[26:27], v[106:107], v[72:73]
	s_waitcnt lgkmcnt(0)
	v_mul_f64 v[28:29], v[114:115], v[82:83]
	v_mul_f64 v[34:35], v[126:127], v[76:77]
	;; [unrolled: 1-line block ×7, first 2 shown]
	s_mov_b32 s27, 0xbfe4f49e
	s_mov_b32 s30, 0xfd768dbf
	;; [unrolled: 1-line block ×15, first 2 shown]
	v_fma_f64 v[48:49], v[84:85], v[54:55], -v[4:5]
	v_fma_f64 v[4:5], v[92:93], v[58:59], -v[6:7]
	v_fma_f64 v[0:1], v[88:89], v[44:45], v[0:1]
	v_fma_f64 v[2:3], v[88:89], v[46:47], -v[2:3]
	ds_load_b128 v[88:91], v174 offset:6336
	ds_load_b128 v[44:47], v174
	v_fma_f64 v[50:51], v[96:97], v[62:63], -v[8:9]
	v_fma_f64 v[6:7], v[92:93], v[56:57], v[10:11]
	v_fma_f64 v[12:13], v[108:109], v[66:67], -v[12:13]
	v_fma_f64 v[56:57], v[116:117], v[70:71], -v[14:15]
	v_fma_f64 v[14:15], v[108:109], v[64:65], v[18:19]
	v_fma_f64 v[54:55], v[96:97], v[60:61], v[20:21]
	v_fma_f64 v[18:19], v[104:105], v[74:75], -v[26:27]
	v_fma_f64 v[20:21], v[112:113], v[80:81], v[28:29]
	v_fma_f64 v[26:27], v[124:125], v[78:79], -v[34:35]
	v_fma_f64 v[52:53], v[84:85], v[52:53], v[16:17]
	v_fma_f64 v[16:17], v[104:105], v[72:73], v[22:23]
	;; [unrolled: 1-line block ×3, first 2 shown]
	v_fma_f64 v[22:23], v[112:113], v[82:83], -v[30:31]
	v_fma_f64 v[24:25], v[124:125], v[76:77], v[32:33]
	s_waitcnt lgkmcnt(1)
	v_mul_f64 v[36:37], v[122:123], v[90:91]
	v_mul_f64 v[38:39], v[122:123], v[88:89]
	s_waitcnt lgkmcnt(0)
	v_add_f64 v[8:9], v[44:45], v[0:1]
	v_add_f64 v[10:11], v[46:47], v[2:3]
	v_add_f64 v[32:33], v[2:3], -v[48:49]
	v_add_f64 v[2:3], v[2:3], v[48:49]
	v_add_f64 v[34:35], v[4:5], -v[50:51]
	v_add_f64 v[42:43], v[6:7], v[54:55]
	v_add_f64 v[40:41], v[0:1], v[52:53]
	v_add_f64 v[0:1], v[0:1], -v[52:53]
	v_add_f64 v[64:65], v[16:17], v[20:21]
	v_add_f64 v[66:67], v[18:19], v[22:23]
	v_add_f64 v[68:69], v[18:19], -v[22:23]
	v_add_f64 v[70:71], v[16:17], -v[20:21]
	v_add_f64 v[60:61], v[14:15], v[58:59]
	v_add_f64 v[62:63], v[14:15], -v[58:59]
	v_fma_f64 v[28:29], v[120:121], v[88:89], v[36:37]
	v_add_f64 v[36:37], v[4:5], v[50:51]
	v_fma_f64 v[30:31], v[120:121], v[90:91], -v[38:39]
	v_add_f64 v[38:39], v[12:13], v[56:57]
	v_add_f64 v[8:9], v[8:9], v[6:7]
	;; [unrolled: 1-line block ×3, first 2 shown]
	v_mul_f64 v[80:81], v[32:33], s[0:1]
	v_mul_f64 v[82:83], v[2:3], s[8:9]
	;; [unrolled: 1-line block ×10, first 2 shown]
	v_add_f64 v[10:11], v[12:13], -v[56:57]
	v_add_f64 v[6:7], v[6:7], -v[54:55]
	v_mul_f64 v[96:97], v[34:35], s[12:13]
	v_mul_f64 v[100:101], v[34:35], s[24:25]
	;; [unrolled: 1-line block ×8, first 2 shown]
	v_add_f64 v[72:73], v[24:25], v[28:29]
	v_mul_f64 v[98:99], v[36:37], s[14:15]
	v_add_f64 v[74:75], v[26:27], v[30:31]
	v_mul_f64 v[102:103], v[36:37], s[34:35]
	v_mul_f64 v[106:107], v[36:37], s[20:21]
	;; [unrolled: 1-line block ×6, first 2 shown]
	v_add_f64 v[76:77], v[24:25], -v[28:29]
	v_add_f64 v[78:79], v[26:27], -v[30:31]
	v_mul_f64 v[38:39], v[38:39], s[26:27]
	v_mul_f64 v[136:137], v[68:69], s[30:31]
	;; [unrolled: 1-line block ×5, first 2 shown]
	v_add_f64 v[8:9], v[8:9], v[14:15]
	v_add_f64 v[4:5], v[4:5], v[12:13]
	v_mul_f64 v[12:13], v[36:37], s[26:27]
	v_mul_f64 v[14:15], v[34:35], s[36:37]
	v_fma_f64 v[156:157], v[40:41], s[14:15], v[84:85]
	v_fma_f64 v[158:159], v[0:1], s[16:17], v[86:87]
	v_fma_f64 v[84:85], v[40:41], s[14:15], -v[84:85]
	v_fma_f64 v[160:161], v[40:41], s[20:21], v[88:89]
	v_fma_f64 v[162:163], v[0:1], s[22:23], v[90:91]
	v_fma_f64 v[88:89], v[40:41], s[20:21], -v[88:89]
	v_fma_f64 v[164:165], v[40:41], s[26:27], v[92:93]
	v_fma_f64 v[166:167], v[0:1], s[28:29], v[94:95]
	v_mul_f64 v[34:35], v[34:35], s[10:11]
	v_mul_f64 v[36:37], v[36:37], s[8:9]
	v_fma_f64 v[92:93], v[40:41], s[26:27], -v[92:93]
	v_fma_f64 v[168:169], v[40:41], s[34:35], v[32:33]
	v_fma_f64 v[170:171], v[0:1], s[36:37], v[2:3]
	;; [unrolled: 1-line block ×5, first 2 shown]
	v_fma_f64 v[32:33], v[40:41], s[34:35], -v[32:33]
	v_mul_f64 v[108:109], v[10:11], s[18:19]
	v_mul_f64 v[112:113], v[10:11], s[36:37]
	v_fma_f64 v[175:176], v[42:43], s[26:27], v[100:101]
	v_mul_f64 v[142:143], v[74:75], s[34:35]
	v_mul_f64 v[146:147], v[74:75], s[8:9]
	;; [unrolled: 1-line block ×5, first 2 shown]
	v_fma_f64 v[100:101], v[42:43], s[26:27], -v[100:101]
	v_fma_f64 v[181:182], v[6:7], s[30:31], v[102:103]
	v_mul_f64 v[120:121], v[10:11], s[0:1]
	v_fma_f64 v[183:184], v[42:43], s[20:21], v[104:105]
	v_fma_f64 v[185:186], v[6:7], s[18:19], v[106:107]
	v_mul_f64 v[10:11], v[10:11], s[24:25]
	v_fma_f64 v[104:105], v[42:43], s[20:21], -v[104:105]
	v_fma_f64 v[102:103], v[6:7], s[36:37], v[102:103]
	v_fma_f64 v[189:190], v[62:63], s[30:31], v[114:115]
	v_add_f64 v[8:9], v[8:9], v[16:17]
	v_add_f64 v[4:5], v[4:5], v[18:19]
	v_mul_f64 v[16:17], v[74:75], s[20:21]
	v_fma_f64 v[18:19], v[40:41], s[8:9], v[80:81]
	v_fma_f64 v[74:75], v[0:1], s[10:11], v[82:83]
	v_fma_f64 v[80:81], v[40:41], s[8:9], -v[80:81]
	v_fma_f64 v[82:83], v[0:1], s[0:1], v[82:83]
	v_fma_f64 v[0:1], v[0:1], s[30:31], v[2:3]
	;; [unrolled: 1-line block ×4, first 2 shown]
	v_fma_f64 v[96:97], v[42:43], s[14:15], -v[96:97]
	v_fma_f64 v[98:99], v[6:7], s[12:13], v[98:99]
	v_fma_f64 v[177:178], v[6:7], s[28:29], v[12:13]
	v_add_f64 v[156:157], v[44:45], v[156:157]
	v_add_f64 v[158:159], v[46:47], v[158:159]
	v_fma_f64 v[179:180], v[42:43], s[34:35], v[14:15]
	v_add_f64 v[84:85], v[44:45], v[84:85]
	v_add_f64 v[160:161], v[44:45], v[160:161]
	;; [unrolled: 1-line block ×3, first 2 shown]
	v_fma_f64 v[14:15], v[42:43], s[34:35], -v[14:15]
	v_add_f64 v[88:89], v[44:45], v[88:89]
	v_add_f64 v[164:165], v[44:45], v[164:165]
	;; [unrolled: 1-line block ×6, first 2 shown]
	v_fma_f64 v[12:13], v[6:7], s[24:25], v[12:13]
	v_add_f64 v[32:33], v[44:45], v[32:33]
	v_add_f64 v[90:91], v[46:47], v[90:91]
	v_add_f64 v[86:87], v[46:47], v[86:87]
	v_fma_f64 v[187:188], v[60:61], s[34:35], v[112:113]
	v_fma_f64 v[191:192], v[60:61], s[14:15], v[116:117]
	;; [unrolled: 1-line block ×3, first 2 shown]
	v_fma_f64 v[112:113], v[60:61], s[34:35], -v[112:113]
	v_fma_f64 v[116:117], v[60:61], s[14:15], -v[116:117]
	v_mul_f64 v[66:67], v[66:67], s[14:15]
	v_fma_f64 v[118:119], v[62:63], s[16:17], v[118:119]
	v_fma_f64 v[114:115], v[62:63], s[36:37], v[114:115]
	v_add_f64 v[8:9], v[8:9], v[24:25]
	v_add_f64 v[4:5], v[4:5], v[26:27]
	v_fma_f64 v[24:25], v[6:7], s[22:23], v[106:107]
	v_add_f64 v[18:19], v[44:45], v[18:19]
	v_fma_f64 v[26:27], v[42:43], s[8:9], v[34:35]
	v_add_f64 v[80:81], v[44:45], v[80:81]
	v_add_f64 v[82:83], v[46:47], v[82:83]
	v_fma_f64 v[106:107], v[6:7], s[0:1], v[36:37]
	v_fma_f64 v[34:35], v[42:43], s[8:9], -v[34:35]
	v_fma_f64 v[6:7], v[6:7], s[10:11], v[36:37]
	v_add_f64 v[0:1], v[46:47], v[0:1]
	v_add_f64 v[44:45], v[46:47], v[94:95]
	v_fma_f64 v[36:37], v[60:61], s[20:21], v[108:109]
	v_fma_f64 v[42:43], v[62:63], s[22:23], v[110:111]
	;; [unrolled: 1-line block ×4, first 2 shown]
	v_add_f64 v[84:85], v[100:101], v[84:85]
	v_fma_f64 v[108:109], v[60:61], s[20:21], -v[108:109]
	v_add_f64 v[100:101], v[181:182], v[162:163]
	v_mul_f64 v[144:145], v[78:79], s[10:11]
	v_add_f64 v[14:15], v[14:15], v[88:89]
	v_add_f64 v[88:89], v[183:184], v[164:165]
	v_fma_f64 v[195:196], v[64:65], s[20:21], v[128:129]
	v_add_f64 v[92:93], v[104:105], v[92:93]
	v_fma_f64 v[197:198], v[70:71], s[18:19], v[130:131]
	v_mul_f64 v[140:141], v[78:79], s[30:31]
	v_mul_f64 v[148:149], v[78:79], s[24:25]
	;; [unrolled: 1-line block ×3, first 2 shown]
	v_fma_f64 v[128:129], v[64:65], s[20:21], -v[128:129]
	v_add_f64 v[12:13], v[12:13], v[86:87]
	v_fma_f64 v[86:87], v[70:71], s[36:37], v[138:139]
	v_mul_f64 v[78:79], v[78:79], s[18:19]
	v_fma_f64 v[130:131], v[70:71], s[22:23], v[130:131]
	v_add_f64 v[8:9], v[8:9], v[28:29]
	v_add_f64 v[4:5], v[4:5], v[30:31]
	;; [unrolled: 1-line block ×4, first 2 shown]
	v_fma_f64 v[30:31], v[60:61], s[8:9], v[120:121]
	v_add_f64 v[18:19], v[96:97], v[80:81]
	v_add_f64 v[80:81], v[98:99], v[82:83]
	v_add_f64 v[82:83], v[175:176], v[156:157]
	v_add_f64 v[96:97], v[177:178], v[158:159]
	v_add_f64 v[98:99], v[179:180], v[160:161]
	v_fma_f64 v[46:47], v[62:63], s[10:11], v[122:123]
	v_add_f64 v[156:157], v[185:186], v[166:167]
	v_fma_f64 v[74:75], v[60:61], s[8:9], -v[120:121]
	v_fma_f64 v[120:121], v[60:61], s[26:27], v[10:11]
	v_fma_f64 v[122:123], v[62:63], s[28:29], v[38:39]
	v_add_f64 v[26:27], v[26:27], v[168:169]
	v_add_f64 v[104:105], v[106:107], v[170:171]
	v_fma_f64 v[10:11], v[60:61], s[26:27], -v[10:11]
	v_fma_f64 v[38:39], v[62:63], s[24:25], v[38:39]
	v_add_f64 v[32:33], v[34:35], v[32:33]
	v_add_f64 v[0:1], v[6:7], v[0:1]
	;; [unrolled: 1-line block ×4, first 2 shown]
	v_fma_f64 v[60:61], v[64:65], s[26:27], v[124:125]
	v_fma_f64 v[34:35], v[64:65], s[8:9], -v[132:133]
	v_fma_f64 v[44:45], v[64:65], s[34:35], v[136:137]
	v_add_f64 v[84:85], v[112:113], v[84:85]
	v_add_f64 v[14:15], v[116:117], v[14:15]
	v_fma_f64 v[106:107], v[64:65], s[14:15], v[68:69]
	v_fma_f64 v[124:125], v[64:65], s[26:27], -v[124:125]
	v_fma_f64 v[90:91], v[64:65], s[34:35], -v[136:137]
	v_fma_f64 v[102:103], v[70:71], s[30:31], v[138:139]
	v_add_f64 v[12:13], v[114:115], v[12:13]
	v_fma_f64 v[62:63], v[70:71], s[28:29], v[126:127]
	v_fma_f64 v[126:127], v[70:71], s[24:25], v[126:127]
	;; [unrolled: 1-line block ×5, first 2 shown]
	v_add_f64 v[8:9], v[8:9], v[20:21]
	v_add_f64 v[4:5], v[4:5], v[22:23]
	;; [unrolled: 1-line block ×4, first 2 shown]
	v_fma_f64 v[22:23], v[64:65], s[8:9], v[132:133]
	v_fma_f64 v[28:29], v[70:71], s[10:11], v[134:135]
	v_add_f64 v[36:37], v[110:111], v[80:81]
	v_add_f64 v[80:81], v[187:188], v[82:83]
	;; [unrolled: 1-line block ×7, first 2 shown]
	v_fma_f64 v[132:133], v[70:71], s[12:13], v[66:67]
	v_fma_f64 v[64:65], v[64:65], s[14:15], -v[68:69]
	v_add_f64 v[26:27], v[120:121], v[26:27]
	v_add_f64 v[88:89], v[122:123], v[104:105]
	v_fma_f64 v[66:67], v[70:71], s[16:17], v[66:67]
	v_add_f64 v[74:75], v[74:75], v[92:93]
	v_add_f64 v[10:11], v[10:11], v[32:33]
	;; [unrolled: 1-line block ×4, first 2 shown]
	v_fma_f64 v[40:41], v[70:71], s[0:1], v[134:135]
	v_add_f64 v[18:19], v[108:109], v[18:19]
	v_add_f64 v[24:25], v[118:119], v[24:25]
	v_fma_f64 v[32:33], v[72:73], s[8:9], v[144:145]
	v_fma_f64 v[38:39], v[76:77], s[0:1], v[146:147]
	;; [unrolled: 1-line block ×11, first 2 shown]
	v_add_f64 v[76:77], v[128:129], v[84:85]
	v_add_f64 v[14:15], v[34:35], v[14:15]
	;; [unrolled: 1-line block ×6, first 2 shown]
	v_fma_f64 v[42:43], v[72:73], s[8:9], -v[144:145]
	v_fma_f64 v[118:119], v[72:73], s[20:21], v[78:79]
	v_fma_f64 v[70:71], v[72:73], s[34:35], -v[140:141]
	v_add_f64 v[58:59], v[195:196], v[80:81]
	v_add_f64 v[60:61], v[197:198], v[82:83]
	;; [unrolled: 1-line block ×6, first 2 shown]
	v_fma_f64 v[104:105], v[72:73], s[26:27], -v[148:149]
	v_fma_f64 v[114:115], v[72:73], s[14:15], -v[152:153]
	v_add_f64 v[26:27], v[106:107], v[26:27]
	v_add_f64 v[80:81], v[132:133], v[88:89]
	v_fma_f64 v[72:73], v[72:73], s[20:21], -v[78:79]
	v_add_f64 v[46:47], v[90:91], v[74:75]
	v_add_f64 v[10:11], v[64:65], v[10:11]
	;; [unrolled: 1-line block ×8, first 2 shown]
	s_mul_i32 s0, s5, 0x420
	s_mul_hi_u32 s1, s4, 0x420
	v_add_f64 v[8:9], v[8:9], v[54:55]
	v_add_f64 v[4:5], v[4:5], v[50:51]
	;; [unrolled: 1-line block ×5, first 2 shown]
	v_mad_u64_u32 v[2:3], null, s4, v173, 0
	v_add_f64 v[58:59], v[32:33], v[58:59]
	v_add_f64 v[60:61], v[38:39], v[60:61]
	v_add_f64 v[66:67], v[94:95], v[22:23]
	v_add_f64 v[68:69], v[100:101], v[28:29]
	v_add_f64 v[74:75], v[110:111], v[30:31]
	v_add_f64 v[76:77], v[112:113], v[34:35]
	v_add_f64 v[82:83], v[118:119], v[26:27]
	v_add_f64 v[84:85], v[120:121], v[80:81]
	v_add_f64 v[78:79], v[114:115], v[46:47]
	v_add_f64 v[86:87], v[72:73], v[10:11]
	v_add_f64 v[88:89], v[16:17], v[0:1]
	v_add_f64 v[80:81], v[116:117], v[6:7]
	v_add_f64 v[64:65], v[92:93], v[12:13]
	v_add_f64 v[54:55], v[70:71], v[18:19]
	v_add_f64 v[70:71], v[104:105], v[14:15]
	v_add_f64 v[72:73], v[108:109], v[24:25]
	v_add_f64 v[56:57], v[136:137], v[36:37]
	scratch_load_b64 v[0:1], off, off offset:84 ; 8-byte Folded Reload
	v_add_f64 v[50:51], v[8:9], v[52:53]
	v_add_f64 v[52:53], v[4:5], v[48:49]
	;; [unrolled: 1-line block ×3, first 2 shown]
	ds_store_b128 v174, v[58:61] offset:2112
	ds_store_b128 v174, v[66:69] offset:3168
	;; [unrolled: 1-line block ×9, first 2 shown]
	ds_store_b128 v174, v[50:53]
	ds_store_b128 v174, v[44:47] offset:1056
	s_waitcnt vmcnt(0) lgkmcnt(0)
	s_barrier
	buffer_gl0_inv
	ds_load_b128 v[44:47], v174
	ds_load_b128 v[48:51], v174 offset:1056
	ds_load_b128 v[52:55], v174 offset:2112
	;; [unrolled: 1-line block ×10, first 2 shown]
	s_clause 0x2
	scratch_load_b128 v[96:99], off, off offset:20
	scratch_load_b128 v[110:113], off, off offset:124
	;; [unrolled: 1-line block ×3, first 2 shown]
	v_mov_b32_e32 v6, v0
	s_delay_alu instid0(VALU_DEP_1) | instskip(NEXT) | instid1(VALU_DEP_1)
	v_mad_u64_u32 v[0:1], null, s6, v6, 0
	v_mad_u64_u32 v[4:5], null, s7, v6, v[1:2]
	s_delay_alu instid0(VALU_DEP_1) | instskip(SKIP_1) | instid1(VALU_DEP_1)
	v_mad_u64_u32 v[5:6], null, s5, v173, v[3:4]
	v_mov_b32_e32 v1, v4
	v_lshlrev_b64 v[0:1], 4, v[0:1]
	s_delay_alu instid0(VALU_DEP_3) | instskip(NEXT) | instid1(VALU_DEP_1)
	v_mov_b32_e32 v3, v5
	v_lshlrev_b64 v[2:3], 4, v[2:3]
	s_delay_alu instid0(VALU_DEP_3) | instskip(NEXT) | instid1(VALU_DEP_4)
	v_add_co_u32 v0, vcc_lo, s2, v0
	v_add_co_ci_u32_e32 v1, vcc_lo, s3, v1, vcc_lo
	s_mul_i32 s2, s4, 0x420
	s_delay_alu instid0(VALU_DEP_2) | instskip(NEXT) | instid1(VALU_DEP_2)
	v_add_co_u32 v92, vcc_lo, v0, v2
	v_add_co_ci_u32_e32 v93, vcc_lo, v1, v3, vcc_lo
	s_add_i32 s3, s1, s0
	s_delay_alu instid0(VALU_DEP_2) | instskip(NEXT) | instid1(VALU_DEP_2)
	v_add_co_u32 v94, vcc_lo, v92, s2
	v_add_co_ci_u32_e32 v95, vcc_lo, s3, v93, vcc_lo
	s_mov_b32 s0, 0x3a88d0c0
	s_mov_b32 s1, 0x3f569147
	s_waitcnt vmcnt(2) lgkmcnt(10)
	v_mul_f64 v[4:5], v[98:99], v[46:47]
	v_mul_f64 v[6:7], v[98:99], v[44:45]
	scratch_load_b128 v[98:101], off, off offset:36 ; 16-byte Folded Reload
	s_waitcnt vmcnt(2) lgkmcnt(6)
	v_mul_f64 v[20:21], v[112:113], v[62:63]
	v_mul_f64 v[22:23], v[112:113], v[60:61]
	scratch_load_b128 v[112:115], off, off offset:140 ; 16-byte Folded Reload
	;; [unrolled: 4-line block ×3, first 2 shown]
	v_fma_f64 v[0:1], v[96:97], v[44:45], v[4:5]
	v_fma_f64 v[2:3], v[96:97], v[46:47], -v[6:7]
	v_add_co_u32 v44, vcc_lo, v94, s2
	v_add_co_ci_u32_e32 v45, vcc_lo, s3, v95, vcc_lo
	s_delay_alu instid0(VALU_DEP_2) | instskip(NEXT) | instid1(VALU_DEP_2)
	v_add_co_u32 v46, vcc_lo, v44, s2
	v_add_co_ci_u32_e32 v47, vcc_lo, s3, v45, vcc_lo
	v_mul_f64 v[0:1], v[0:1], s[0:1]
	v_mul_f64 v[2:3], v[2:3], s[0:1]
	s_waitcnt vmcnt(2)
	v_mul_f64 v[8:9], v[100:101], v[50:51]
	v_mul_f64 v[10:11], v[100:101], v[48:49]
	scratch_load_b128 v[100:103], off, off offset:52 ; 16-byte Folded Reload
	s_waitcnt vmcnt(2)
	v_mul_f64 v[28:29], v[114:115], v[70:71]
	v_mul_f64 v[30:31], v[114:115], v[68:69]
	scratch_load_b128 v[114:117], off, off offset:156 ; 16-byte Folded Reload
	s_waitcnt vmcnt(2) lgkmcnt(0)
	v_mul_f64 v[88:89], v[122:123], v[86:87]
	v_mul_f64 v[90:91], v[122:123], v[84:85]
	v_fma_f64 v[4:5], v[98:99], v[48:49], v[8:9]
	v_fma_f64 v[6:7], v[98:99], v[50:51], -v[10:11]
	v_add_co_u32 v48, vcc_lo, v46, s2
	v_add_co_ci_u32_e32 v49, vcc_lo, s3, v47, vcc_lo
	s_delay_alu instid0(VALU_DEP_2) | instskip(NEXT) | instid1(VALU_DEP_2)
	v_add_co_u32 v50, vcc_lo, v48, s2
	v_add_co_ci_u32_e32 v51, vcc_lo, s3, v49, vcc_lo
	v_mul_f64 v[4:5], v[4:5], s[0:1]
	v_mul_f64 v[6:7], v[6:7], s[0:1]
	s_waitcnt vmcnt(1)
	v_mul_f64 v[12:13], v[102:103], v[54:55]
	v_mul_f64 v[14:15], v[102:103], v[52:53]
	scratch_load_b128 v[102:105], off, off offset:68 ; 16-byte Folded Reload
	s_waitcnt vmcnt(1)
	v_mul_f64 v[40:41], v[116:117], v[82:83]
	v_mul_f64 v[42:43], v[116:117], v[80:81]
	v_fma_f64 v[8:9], v[100:101], v[52:53], v[12:13]
	v_fma_f64 v[10:11], v[100:101], v[54:55], -v[14:15]
	v_add_co_u32 v52, vcc_lo, v50, s2
	v_add_co_ci_u32_e32 v53, vcc_lo, s3, v51, vcc_lo
	s_delay_alu instid0(VALU_DEP_2) | instskip(NEXT) | instid1(VALU_DEP_2)
	v_add_co_u32 v54, vcc_lo, v52, s2
	v_add_co_ci_u32_e32 v55, vcc_lo, s3, v53, vcc_lo
	v_mul_f64 v[8:9], v[8:9], s[0:1]
	v_mul_f64 v[10:11], v[10:11], s[0:1]
	s_waitcnt vmcnt(0)
	v_mul_f64 v[16:17], v[104:105], v[58:59]
	v_mul_f64 v[18:19], v[104:105], v[56:57]
	scratch_load_b128 v[104:107], off, off offset:92 ; 16-byte Folded Reload
	v_fma_f64 v[12:13], v[102:103], v[56:57], v[16:17]
	v_fma_f64 v[14:15], v[102:103], v[58:59], -v[18:19]
	v_fma_f64 v[16:17], v[110:111], v[60:61], v[20:21]
	v_fma_f64 v[18:19], v[110:111], v[62:63], -v[22:23]
	v_add_co_u32 v56, vcc_lo, v54, s2
	v_add_co_ci_u32_e32 v57, vcc_lo, s3, v55, vcc_lo
	s_delay_alu instid0(VALU_DEP_2) | instskip(NEXT) | instid1(VALU_DEP_2)
	v_add_co_u32 v58, vcc_lo, v56, s2
	v_add_co_ci_u32_e32 v59, vcc_lo, s3, v57, vcc_lo
	s_delay_alu instid0(VALU_DEP_2) | instskip(NEXT) | instid1(VALU_DEP_2)
	v_add_co_u32 v60, vcc_lo, v58, s2
	v_add_co_ci_u32_e32 v61, vcc_lo, s3, v59, vcc_lo
	v_mul_f64 v[12:13], v[12:13], s[0:1]
	v_mul_f64 v[14:15], v[14:15], s[0:1]
	v_mul_f64 v[16:17], v[16:17], s[0:1]
	v_mul_f64 v[18:19], v[18:19], s[0:1]
	s_waitcnt vmcnt(0)
	v_mul_f64 v[24:25], v[106:107], v[66:67]
	v_mul_f64 v[26:27], v[106:107], v[64:65]
	scratch_load_b128 v[106:109], off, off offset:108 ; 16-byte Folded Reload
	v_fma_f64 v[20:21], v[104:105], v[64:65], v[24:25]
	v_fma_f64 v[22:23], v[104:105], v[66:67], -v[26:27]
	v_fma_f64 v[24:25], v[112:113], v[68:69], v[28:29]
	v_fma_f64 v[26:27], v[112:113], v[70:71], -v[30:31]
	s_delay_alu instid0(VALU_DEP_4) | instskip(NEXT) | instid1(VALU_DEP_4)
	v_mul_f64 v[20:21], v[20:21], s[0:1]
	v_mul_f64 v[22:23], v[22:23], s[0:1]
	s_delay_alu instid0(VALU_DEP_4) | instskip(NEXT) | instid1(VALU_DEP_4)
	v_mul_f64 v[24:25], v[24:25], s[0:1]
	v_mul_f64 v[26:27], v[26:27], s[0:1]
	s_waitcnt vmcnt(0)
	v_mul_f64 v[32:33], v[108:109], v[74:75]
	v_mul_f64 v[34:35], v[108:109], v[72:73]
	s_delay_alu instid0(VALU_DEP_2) | instskip(NEXT) | instid1(VALU_DEP_2)
	v_fma_f64 v[28:29], v[106:107], v[72:73], v[32:33]
	v_fma_f64 v[30:31], v[106:107], v[74:75], -v[34:35]
	v_fma_f64 v[32:33], v[118:119], v[76:77], v[36:37]
	v_fma_f64 v[34:35], v[118:119], v[78:79], -v[38:39]
	;; [unrolled: 2-line block ×4, first 2 shown]
	v_mul_f64 v[28:29], v[28:29], s[0:1]
	v_mul_f64 v[30:31], v[30:31], s[0:1]
	;; [unrolled: 1-line block ×8, first 2 shown]
	s_clause 0x4
	global_store_b128 v[92:93], v[0:3], off
	global_store_b128 v[94:95], v[4:7], off
	;; [unrolled: 1-line block ×11, first 2 shown]
.LBB0_10:
	s_nop 0
	s_sendmsg sendmsg(MSG_DEALLOC_VGPRS)
	s_endpgm
	.section	.rodata,"a",@progbits
	.p2align	6, 0x0
	.amdhsa_kernel bluestein_single_fwd_len726_dim1_dp_op_CI_CI
		.amdhsa_group_segment_fixed_size 23232
		.amdhsa_private_segment_fixed_size 280
		.amdhsa_kernarg_size 104
		.amdhsa_user_sgpr_count 15
		.amdhsa_user_sgpr_dispatch_ptr 0
		.amdhsa_user_sgpr_queue_ptr 0
		.amdhsa_user_sgpr_kernarg_segment_ptr 1
		.amdhsa_user_sgpr_dispatch_id 0
		.amdhsa_user_sgpr_private_segment_size 0
		.amdhsa_wavefront_size32 1
		.amdhsa_uses_dynamic_stack 0
		.amdhsa_enable_private_segment 1
		.amdhsa_system_sgpr_workgroup_id_x 1
		.amdhsa_system_sgpr_workgroup_id_y 0
		.amdhsa_system_sgpr_workgroup_id_z 0
		.amdhsa_system_sgpr_workgroup_info 0
		.amdhsa_system_vgpr_workitem_id 0
		.amdhsa_next_free_vgpr 256
		.amdhsa_next_free_sgpr 38
		.amdhsa_reserve_vcc 1
		.amdhsa_float_round_mode_32 0
		.amdhsa_float_round_mode_16_64 0
		.amdhsa_float_denorm_mode_32 3
		.amdhsa_float_denorm_mode_16_64 3
		.amdhsa_dx10_clamp 1
		.amdhsa_ieee_mode 1
		.amdhsa_fp16_overflow 0
		.amdhsa_workgroup_processor_mode 1
		.amdhsa_memory_ordered 1
		.amdhsa_forward_progress 0
		.amdhsa_shared_vgpr_count 0
		.amdhsa_exception_fp_ieee_invalid_op 0
		.amdhsa_exception_fp_denorm_src 0
		.amdhsa_exception_fp_ieee_div_zero 0
		.amdhsa_exception_fp_ieee_overflow 0
		.amdhsa_exception_fp_ieee_underflow 0
		.amdhsa_exception_fp_ieee_inexact 0
		.amdhsa_exception_int_div_zero 0
	.end_amdhsa_kernel
	.text
.Lfunc_end0:
	.size	bluestein_single_fwd_len726_dim1_dp_op_CI_CI, .Lfunc_end0-bluestein_single_fwd_len726_dim1_dp_op_CI_CI
                                        ; -- End function
	.section	.AMDGPU.csdata,"",@progbits
; Kernel info:
; codeLenInByte = 18868
; NumSgprs: 40
; NumVgprs: 256
; ScratchSize: 280
; MemoryBound: 0
; FloatMode: 240
; IeeeMode: 1
; LDSByteSize: 23232 bytes/workgroup (compile time only)
; SGPRBlocks: 4
; VGPRBlocks: 31
; NumSGPRsForWavesPerEU: 40
; NumVGPRsForWavesPerEU: 256
; Occupancy: 5
; WaveLimiterHint : 1
; COMPUTE_PGM_RSRC2:SCRATCH_EN: 1
; COMPUTE_PGM_RSRC2:USER_SGPR: 15
; COMPUTE_PGM_RSRC2:TRAP_HANDLER: 0
; COMPUTE_PGM_RSRC2:TGID_X_EN: 1
; COMPUTE_PGM_RSRC2:TGID_Y_EN: 0
; COMPUTE_PGM_RSRC2:TGID_Z_EN: 0
; COMPUTE_PGM_RSRC2:TIDIG_COMP_CNT: 0
	.text
	.p2alignl 7, 3214868480
	.fill 96, 4, 3214868480
	.type	__hip_cuid_4200adb897d2d92b,@object ; @__hip_cuid_4200adb897d2d92b
	.section	.bss,"aw",@nobits
	.globl	__hip_cuid_4200adb897d2d92b
__hip_cuid_4200adb897d2d92b:
	.byte	0                               ; 0x0
	.size	__hip_cuid_4200adb897d2d92b, 1

	.ident	"AMD clang version 19.0.0git (https://github.com/RadeonOpenCompute/llvm-project roc-6.4.0 25133 c7fe45cf4b819c5991fe208aaa96edf142730f1d)"
	.section	".note.GNU-stack","",@progbits
	.addrsig
	.addrsig_sym __hip_cuid_4200adb897d2d92b
	.amdgpu_metadata
---
amdhsa.kernels:
  - .args:
      - .actual_access:  read_only
        .address_space:  global
        .offset:         0
        .size:           8
        .value_kind:     global_buffer
      - .actual_access:  read_only
        .address_space:  global
        .offset:         8
        .size:           8
        .value_kind:     global_buffer
      - .actual_access:  read_only
        .address_space:  global
        .offset:         16
        .size:           8
        .value_kind:     global_buffer
      - .actual_access:  read_only
        .address_space:  global
        .offset:         24
        .size:           8
        .value_kind:     global_buffer
      - .actual_access:  read_only
        .address_space:  global
        .offset:         32
        .size:           8
        .value_kind:     global_buffer
      - .offset:         40
        .size:           8
        .value_kind:     by_value
      - .address_space:  global
        .offset:         48
        .size:           8
        .value_kind:     global_buffer
      - .address_space:  global
        .offset:         56
        .size:           8
        .value_kind:     global_buffer
      - .address_space:  global
        .offset:         64
        .size:           8
        .value_kind:     global_buffer
      - .address_space:  global
        .offset:         72
        .size:           8
        .value_kind:     global_buffer
      - .offset:         80
        .size:           4
        .value_kind:     by_value
      - .address_space:  global
        .offset:         88
        .size:           8
        .value_kind:     global_buffer
      - .address_space:  global
        .offset:         96
        .size:           8
        .value_kind:     global_buffer
    .group_segment_fixed_size: 23232
    .kernarg_segment_align: 8
    .kernarg_segment_size: 104
    .language:       OpenCL C
    .language_version:
      - 2
      - 0
    .max_flat_workgroup_size: 132
    .name:           bluestein_single_fwd_len726_dim1_dp_op_CI_CI
    .private_segment_fixed_size: 280
    .sgpr_count:     40
    .sgpr_spill_count: 0
    .symbol:         bluestein_single_fwd_len726_dim1_dp_op_CI_CI.kd
    .uniform_work_group_size: 1
    .uses_dynamic_stack: false
    .vgpr_count:     256
    .vgpr_spill_count: 73
    .wavefront_size: 32
    .workgroup_processor_mode: 1
amdhsa.target:   amdgcn-amd-amdhsa--gfx1100
amdhsa.version:
  - 1
  - 2
...

	.end_amdgpu_metadata
